;; amdgpu-corpus repo=ROCm/rocSPARSE kind=compiled arch=gfx1250 opt=O3
	.amdgcn_target "amdgcn-amd-amdhsa--gfx1250"
	.amdhsa_code_object_version 6
	.section	.text._ZN9rocsparseL34csrgemm_symbolic_max_row_nnz_part1ILj256EiiEEvT1_PKT0_PS1_,"axG",@progbits,_ZN9rocsparseL34csrgemm_symbolic_max_row_nnz_part1ILj256EiiEEvT1_PKT0_PS1_,comdat
	.globl	_ZN9rocsparseL34csrgemm_symbolic_max_row_nnz_part1ILj256EiiEEvT1_PKT0_PS1_ ; -- Begin function _ZN9rocsparseL34csrgemm_symbolic_max_row_nnz_part1ILj256EiiEEvT1_PKT0_PS1_
	.p2align	8
	.type	_ZN9rocsparseL34csrgemm_symbolic_max_row_nnz_part1ILj256EiiEEvT1_PKT0_PS1_,@function
_ZN9rocsparseL34csrgemm_symbolic_max_row_nnz_part1ILj256EiiEEvT1_PKT0_PS1_: ; @_ZN9rocsparseL34csrgemm_symbolic_max_row_nnz_part1ILj256EiiEEvT1_PKT0_PS1_
; %bb.0:
	s_clause 0x1
	s_load_b32 s7, s[0:1], 0x0
	s_load_b64 s[2:3], s[0:1], 0x10
	s_bfe_u32 s4, ttmp6, 0x4000c
	s_and_b32 s5, ttmp6, 15
	s_add_co_i32 s4, s4, 1
	s_getreg_b32 s6, hwreg(HW_REG_IB_STS2, 6, 4)
	s_mul_i32 s4, ttmp9, s4
	v_mov_b32_e32 v4, 0
	s_add_co_i32 s5, s5, s4
	s_cmp_eq_u32 s6, 0
	s_mov_b32 s9, 0
	s_cselect_b32 s6, ttmp9, s5
	s_mov_b32 s8, exec_lo
	v_lshl_or_b32 v2, s6, 8, v0
	s_wait_kmcnt 0x0
	s_delay_alu instid0(VALU_DEP_1)
	v_cmpx_gt_i32_e64 s7, v2
	s_cbranch_execz .LBB0_4
; %bb.1:
	s_clause 0x1
	s_load_b32 s10, s[0:1], 0x18
	s_load_b64 s[4:5], s[0:1], 0x8
	v_mov_b32_e32 v4, 0
	s_wait_kmcnt 0x0
	s_lshl_b32 s0, s10, 8
.LBB0_2:                                ; =>This Inner Loop Header: Depth=1
	v_ashrrev_i32_e32 v3, 31, v2
	s_delay_alu instid0(VALU_DEP_1)
	v_lshl_add_u64 v[6:7], v[2:3], 2, s[4:5]
	v_add_nc_u32_e32 v2, s0, v2
	global_load_b64 v[6:7], v[6:7], off
	v_cmp_le_i32_e32 vcc_lo, s7, v2
	s_or_b32 s9, vcc_lo, s9
	s_wait_loadcnt 0x0
	v_sub_nc_u32_e32 v1, v7, v6
	s_delay_alu instid0(VALU_DEP_1)
	v_max_i32_e32 v4, v4, v1
	s_and_not1_b32 exec_lo, exec_lo, s9
	s_cbranch_execnz .LBB0_2
; %bb.3:
	s_or_b32 exec_lo, exec_lo, s9
.LBB0_4:
	s_delay_alu instid0(SALU_CYCLE_1)
	s_or_b32 exec_lo, exec_lo, s8
	v_lshlrev_b32_e32 v1, 2, v0
	s_mov_b32 s0, exec_lo
	ds_store_b32 v1, v4
	s_wait_dscnt 0x0
	s_barrier_signal -1
	s_barrier_wait -1
	v_cmpx_gt_u32_e32 0x80, v0
	s_cbranch_execz .LBB0_6
; %bb.5:
	ds_load_2addr_stride64_b32 v[2:3], v1 offset1:2
	s_wait_dscnt 0x0
	v_max_i32_e32 v2, v2, v3
	ds_store_b32 v1, v2
.LBB0_6:
	s_or_b32 exec_lo, exec_lo, s0
	s_delay_alu instid0(SALU_CYCLE_1)
	s_mov_b32 s0, exec_lo
	s_wait_dscnt 0x0
	s_barrier_signal -1
	s_barrier_wait -1
	v_cmpx_gt_u32_e32 64, v0
	s_cbranch_execz .LBB0_8
; %bb.7:
	ds_load_2addr_stride64_b32 v[2:3], v1 offset1:1
	s_wait_dscnt 0x0
	v_max_i32_e32 v2, v2, v3
	ds_store_b32 v1, v2
.LBB0_8:
	s_or_b32 exec_lo, exec_lo, s0
	s_delay_alu instid0(SALU_CYCLE_1)
	s_mov_b32 s0, exec_lo
	s_wait_dscnt 0x0
	s_barrier_signal -1
	s_barrier_wait -1
	v_cmpx_gt_u32_e32 32, v0
	s_cbranch_execz .LBB0_10
; %bb.9:
	ds_load_2addr_b32 v[2:3], v1 offset1:32
	s_wait_dscnt 0x0
	v_max_i32_e32 v2, v2, v3
	ds_store_b32 v1, v2
.LBB0_10:
	s_or_b32 exec_lo, exec_lo, s0
	s_delay_alu instid0(SALU_CYCLE_1)
	s_mov_b32 s0, exec_lo
	s_wait_dscnt 0x0
	s_barrier_signal -1
	s_barrier_wait -1
	v_cmpx_gt_u32_e32 16, v0
	s_cbranch_execz .LBB0_12
; %bb.11:
	ds_load_2addr_b32 v[2:3], v1 offset1:16
	s_wait_dscnt 0x0
	v_max_i32_e32 v2, v2, v3
	ds_store_b32 v1, v2
.LBB0_12:
	;; [unrolled: 14-line block ×5, first 2 shown]
	s_or_b32 exec_lo, exec_lo, s0
	v_cmp_eq_u32_e32 vcc_lo, 0, v0
	s_wait_dscnt 0x0
	s_barrier_signal -1
	s_barrier_wait -1
	s_and_saveexec_b32 s0, vcc_lo
	s_cbranch_execz .LBB0_20
; %bb.19:
	v_mov_b32_e32 v2, 0
	ds_load_b64 v[0:1], v2
	s_wait_dscnt 0x0
	v_max_i32_e32 v0, v0, v1
	ds_store_b32 v2, v0
.LBB0_20:
	s_or_b32 exec_lo, exec_lo, s0
	s_wait_dscnt 0x0
	s_barrier_signal -1
	s_barrier_wait -1
	s_and_saveexec_b32 s0, vcc_lo
	s_cbranch_execz .LBB0_22
; %bb.21:
	v_dual_mov_b32 v0, 0 :: v_dual_mov_b32 v1, s6
	ds_load_b32 v0, v0
	s_wait_dscnt 0x0
	global_store_b32 v1, v0, s[2:3] scale_offset
.LBB0_22:
	s_endpgm
	.section	.rodata,"a",@progbits
	.p2align	6, 0x0
	.amdhsa_kernel _ZN9rocsparseL34csrgemm_symbolic_max_row_nnz_part1ILj256EiiEEvT1_PKT0_PS1_
		.amdhsa_group_segment_fixed_size 1024
		.amdhsa_private_segment_fixed_size 0
		.amdhsa_kernarg_size 280
		.amdhsa_user_sgpr_count 2
		.amdhsa_user_sgpr_dispatch_ptr 0
		.amdhsa_user_sgpr_queue_ptr 0
		.amdhsa_user_sgpr_kernarg_segment_ptr 1
		.amdhsa_user_sgpr_dispatch_id 0
		.amdhsa_user_sgpr_kernarg_preload_length 0
		.amdhsa_user_sgpr_kernarg_preload_offset 0
		.amdhsa_user_sgpr_private_segment_size 0
		.amdhsa_wavefront_size32 1
		.amdhsa_uses_dynamic_stack 0
		.amdhsa_enable_private_segment 0
		.amdhsa_system_sgpr_workgroup_id_x 1
		.amdhsa_system_sgpr_workgroup_id_y 0
		.amdhsa_system_sgpr_workgroup_id_z 0
		.amdhsa_system_sgpr_workgroup_info 0
		.amdhsa_system_vgpr_workitem_id 0
		.amdhsa_next_free_vgpr 8
		.amdhsa_next_free_sgpr 11
		.amdhsa_named_barrier_count 0
		.amdhsa_reserve_vcc 1
		.amdhsa_float_round_mode_32 0
		.amdhsa_float_round_mode_16_64 0
		.amdhsa_float_denorm_mode_32 3
		.amdhsa_float_denorm_mode_16_64 3
		.amdhsa_fp16_overflow 0
		.amdhsa_memory_ordered 1
		.amdhsa_forward_progress 1
		.amdhsa_inst_pref_size 6
		.amdhsa_round_robin_scheduling 0
		.amdhsa_exception_fp_ieee_invalid_op 0
		.amdhsa_exception_fp_denorm_src 0
		.amdhsa_exception_fp_ieee_div_zero 0
		.amdhsa_exception_fp_ieee_overflow 0
		.amdhsa_exception_fp_ieee_underflow 0
		.amdhsa_exception_fp_ieee_inexact 0
		.amdhsa_exception_int_div_zero 0
	.end_amdhsa_kernel
	.section	.text._ZN9rocsparseL34csrgemm_symbolic_max_row_nnz_part1ILj256EiiEEvT1_PKT0_PS1_,"axG",@progbits,_ZN9rocsparseL34csrgemm_symbolic_max_row_nnz_part1ILj256EiiEEvT1_PKT0_PS1_,comdat
.Lfunc_end0:
	.size	_ZN9rocsparseL34csrgemm_symbolic_max_row_nnz_part1ILj256EiiEEvT1_PKT0_PS1_, .Lfunc_end0-_ZN9rocsparseL34csrgemm_symbolic_max_row_nnz_part1ILj256EiiEEvT1_PKT0_PS1_
                                        ; -- End function
	.set _ZN9rocsparseL34csrgemm_symbolic_max_row_nnz_part1ILj256EiiEEvT1_PKT0_PS1_.num_vgpr, 8
	.set _ZN9rocsparseL34csrgemm_symbolic_max_row_nnz_part1ILj256EiiEEvT1_PKT0_PS1_.num_agpr, 0
	.set _ZN9rocsparseL34csrgemm_symbolic_max_row_nnz_part1ILj256EiiEEvT1_PKT0_PS1_.numbered_sgpr, 11
	.set _ZN9rocsparseL34csrgemm_symbolic_max_row_nnz_part1ILj256EiiEEvT1_PKT0_PS1_.num_named_barrier, 0
	.set _ZN9rocsparseL34csrgemm_symbolic_max_row_nnz_part1ILj256EiiEEvT1_PKT0_PS1_.private_seg_size, 0
	.set _ZN9rocsparseL34csrgemm_symbolic_max_row_nnz_part1ILj256EiiEEvT1_PKT0_PS1_.uses_vcc, 1
	.set _ZN9rocsparseL34csrgemm_symbolic_max_row_nnz_part1ILj256EiiEEvT1_PKT0_PS1_.uses_flat_scratch, 0
	.set _ZN9rocsparseL34csrgemm_symbolic_max_row_nnz_part1ILj256EiiEEvT1_PKT0_PS1_.has_dyn_sized_stack, 0
	.set _ZN9rocsparseL34csrgemm_symbolic_max_row_nnz_part1ILj256EiiEEvT1_PKT0_PS1_.has_recursion, 0
	.set _ZN9rocsparseL34csrgemm_symbolic_max_row_nnz_part1ILj256EiiEEvT1_PKT0_PS1_.has_indirect_call, 0
	.section	.AMDGPU.csdata,"",@progbits
; Kernel info:
; codeLenInByte = 720
; TotalNumSgprs: 13
; NumVgprs: 8
; ScratchSize: 0
; MemoryBound: 0
; FloatMode: 240
; IeeeMode: 1
; LDSByteSize: 1024 bytes/workgroup (compile time only)
; SGPRBlocks: 0
; VGPRBlocks: 0
; NumSGPRsForWavesPerEU: 13
; NumVGPRsForWavesPerEU: 8
; NamedBarCnt: 0
; Occupancy: 16
; WaveLimiterHint : 0
; COMPUTE_PGM_RSRC2:SCRATCH_EN: 0
; COMPUTE_PGM_RSRC2:USER_SGPR: 2
; COMPUTE_PGM_RSRC2:TRAP_HANDLER: 0
; COMPUTE_PGM_RSRC2:TGID_X_EN: 1
; COMPUTE_PGM_RSRC2:TGID_Y_EN: 0
; COMPUTE_PGM_RSRC2:TGID_Z_EN: 0
; COMPUTE_PGM_RSRC2:TIDIG_COMP_CNT: 0
	.section	.text._ZN9rocsparseL34csrgemm_symbolic_max_row_nnz_part2ILj256EiEEvPT0_,"axG",@progbits,_ZN9rocsparseL34csrgemm_symbolic_max_row_nnz_part2ILj256EiEEvPT0_,comdat
	.globl	_ZN9rocsparseL34csrgemm_symbolic_max_row_nnz_part2ILj256EiEEvPT0_ ; -- Begin function _ZN9rocsparseL34csrgemm_symbolic_max_row_nnz_part2ILj256EiEEvPT0_
	.p2align	8
	.type	_ZN9rocsparseL34csrgemm_symbolic_max_row_nnz_part2ILj256EiEEvPT0_,@function
_ZN9rocsparseL34csrgemm_symbolic_max_row_nnz_part2ILj256EiEEvPT0_: ; @_ZN9rocsparseL34csrgemm_symbolic_max_row_nnz_part2ILj256EiEEvPT0_
; %bb.0:
	s_load_b64 s[0:1], s[0:1], 0x0
	v_lshlrev_b32_e32 v1, 2, v0
	s_mov_b32 s2, exec_lo
	s_wait_kmcnt 0x0
	global_load_b32 v2, v0, s[0:1] scale_offset
	s_wait_loadcnt 0x0
	ds_store_b32 v1, v2
	s_wait_dscnt 0x0
	s_barrier_signal -1
	s_barrier_wait -1
	v_cmpx_gt_u32_e32 0x80, v0
	s_cbranch_execz .LBB1_2
; %bb.1:
	ds_load_2addr_stride64_b32 v[2:3], v1 offset1:2
	s_wait_dscnt 0x0
	v_max_i32_e32 v2, v2, v3
	ds_store_b32 v1, v2
.LBB1_2:
	s_or_b32 exec_lo, exec_lo, s2
	s_delay_alu instid0(SALU_CYCLE_1)
	s_mov_b32 s2, exec_lo
	s_wait_dscnt 0x0
	s_barrier_signal -1
	s_barrier_wait -1
	v_cmpx_gt_u32_e32 64, v0
	s_cbranch_execz .LBB1_4
; %bb.3:
	ds_load_2addr_stride64_b32 v[2:3], v1 offset1:1
	s_wait_dscnt 0x0
	v_max_i32_e32 v2, v2, v3
	ds_store_b32 v1, v2
.LBB1_4:
	s_or_b32 exec_lo, exec_lo, s2
	s_delay_alu instid0(SALU_CYCLE_1)
	s_mov_b32 s2, exec_lo
	s_wait_dscnt 0x0
	s_barrier_signal -1
	s_barrier_wait -1
	v_cmpx_gt_u32_e32 32, v0
	s_cbranch_execz .LBB1_6
; %bb.5:
	ds_load_2addr_b32 v[2:3], v1 offset1:32
	s_wait_dscnt 0x0
	v_max_i32_e32 v2, v2, v3
	ds_store_b32 v1, v2
.LBB1_6:
	s_or_b32 exec_lo, exec_lo, s2
	s_delay_alu instid0(SALU_CYCLE_1)
	s_mov_b32 s2, exec_lo
	s_wait_dscnt 0x0
	s_barrier_signal -1
	s_barrier_wait -1
	v_cmpx_gt_u32_e32 16, v0
	s_cbranch_execz .LBB1_8
; %bb.7:
	ds_load_2addr_b32 v[2:3], v1 offset1:16
	s_wait_dscnt 0x0
	v_max_i32_e32 v2, v2, v3
	ds_store_b32 v1, v2
.LBB1_8:
	;; [unrolled: 14-line block ×5, first 2 shown]
	s_or_b32 exec_lo, exec_lo, s2
	v_cmp_eq_u32_e32 vcc_lo, 0, v0
	s_wait_dscnt 0x0
	s_barrier_signal -1
	s_barrier_wait -1
	s_and_saveexec_b32 s2, vcc_lo
	s_cbranch_execz .LBB1_16
; %bb.15:
	v_mov_b32_e32 v2, 0
	ds_load_b64 v[0:1], v2
	s_wait_dscnt 0x0
	v_max_i32_e32 v0, v0, v1
	ds_store_b32 v2, v0
.LBB1_16:
	s_or_b32 exec_lo, exec_lo, s2
	s_wait_dscnt 0x0
	s_barrier_signal -1
	s_barrier_wait -1
	s_and_saveexec_b32 s2, vcc_lo
	s_cbranch_execz .LBB1_18
; %bb.17:
	v_mov_b32_e32 v0, 0
	ds_load_b32 v1, v0
	s_wait_dscnt 0x0
	global_store_b32 v0, v1, s[0:1]
.LBB1_18:
	s_endpgm
	.section	.rodata,"a",@progbits
	.p2align	6, 0x0
	.amdhsa_kernel _ZN9rocsparseL34csrgemm_symbolic_max_row_nnz_part2ILj256EiEEvPT0_
		.amdhsa_group_segment_fixed_size 1024
		.amdhsa_private_segment_fixed_size 0
		.amdhsa_kernarg_size 8
		.amdhsa_user_sgpr_count 2
		.amdhsa_user_sgpr_dispatch_ptr 0
		.amdhsa_user_sgpr_queue_ptr 0
		.amdhsa_user_sgpr_kernarg_segment_ptr 1
		.amdhsa_user_sgpr_dispatch_id 0
		.amdhsa_user_sgpr_kernarg_preload_length 0
		.amdhsa_user_sgpr_kernarg_preload_offset 0
		.amdhsa_user_sgpr_private_segment_size 0
		.amdhsa_wavefront_size32 1
		.amdhsa_uses_dynamic_stack 0
		.amdhsa_enable_private_segment 0
		.amdhsa_system_sgpr_workgroup_id_x 1
		.amdhsa_system_sgpr_workgroup_id_y 0
		.amdhsa_system_sgpr_workgroup_id_z 0
		.amdhsa_system_sgpr_workgroup_info 0
		.amdhsa_system_vgpr_workitem_id 0
		.amdhsa_next_free_vgpr 4
		.amdhsa_next_free_sgpr 3
		.amdhsa_named_barrier_count 0
		.amdhsa_reserve_vcc 1
		.amdhsa_float_round_mode_32 0
		.amdhsa_float_round_mode_16_64 0
		.amdhsa_float_denorm_mode_32 3
		.amdhsa_float_denorm_mode_16_64 3
		.amdhsa_fp16_overflow 0
		.amdhsa_memory_ordered 1
		.amdhsa_forward_progress 1
		.amdhsa_inst_pref_size 5
		.amdhsa_round_robin_scheduling 0
		.amdhsa_exception_fp_ieee_invalid_op 0
		.amdhsa_exception_fp_denorm_src 0
		.amdhsa_exception_fp_ieee_div_zero 0
		.amdhsa_exception_fp_ieee_overflow 0
		.amdhsa_exception_fp_ieee_underflow 0
		.amdhsa_exception_fp_ieee_inexact 0
		.amdhsa_exception_int_div_zero 0
	.end_amdhsa_kernel
	.section	.text._ZN9rocsparseL34csrgemm_symbolic_max_row_nnz_part2ILj256EiEEvPT0_,"axG",@progbits,_ZN9rocsparseL34csrgemm_symbolic_max_row_nnz_part2ILj256EiEEvPT0_,comdat
.Lfunc_end1:
	.size	_ZN9rocsparseL34csrgemm_symbolic_max_row_nnz_part2ILj256EiEEvPT0_, .Lfunc_end1-_ZN9rocsparseL34csrgemm_symbolic_max_row_nnz_part2ILj256EiEEvPT0_
                                        ; -- End function
	.set _ZN9rocsparseL34csrgemm_symbolic_max_row_nnz_part2ILj256EiEEvPT0_.num_vgpr, 4
	.set _ZN9rocsparseL34csrgemm_symbolic_max_row_nnz_part2ILj256EiEEvPT0_.num_agpr, 0
	.set _ZN9rocsparseL34csrgemm_symbolic_max_row_nnz_part2ILj256EiEEvPT0_.numbered_sgpr, 3
	.set _ZN9rocsparseL34csrgemm_symbolic_max_row_nnz_part2ILj256EiEEvPT0_.num_named_barrier, 0
	.set _ZN9rocsparseL34csrgemm_symbolic_max_row_nnz_part2ILj256EiEEvPT0_.private_seg_size, 0
	.set _ZN9rocsparseL34csrgemm_symbolic_max_row_nnz_part2ILj256EiEEvPT0_.uses_vcc, 1
	.set _ZN9rocsparseL34csrgemm_symbolic_max_row_nnz_part2ILj256EiEEvPT0_.uses_flat_scratch, 0
	.set _ZN9rocsparseL34csrgemm_symbolic_max_row_nnz_part2ILj256EiEEvPT0_.has_dyn_sized_stack, 0
	.set _ZN9rocsparseL34csrgemm_symbolic_max_row_nnz_part2ILj256EiEEvPT0_.has_recursion, 0
	.set _ZN9rocsparseL34csrgemm_symbolic_max_row_nnz_part2ILj256EiEEvPT0_.has_indirect_call, 0
	.section	.AMDGPU.csdata,"",@progbits
; Kernel info:
; codeLenInByte = 540
; TotalNumSgprs: 5
; NumVgprs: 4
; ScratchSize: 0
; MemoryBound: 0
; FloatMode: 240
; IeeeMode: 1
; LDSByteSize: 1024 bytes/workgroup (compile time only)
; SGPRBlocks: 0
; VGPRBlocks: 0
; NumSGPRsForWavesPerEU: 5
; NumVGPRsForWavesPerEU: 4
; NamedBarCnt: 0
; Occupancy: 16
; WaveLimiterHint : 0
; COMPUTE_PGM_RSRC2:SCRATCH_EN: 0
; COMPUTE_PGM_RSRC2:USER_SGPR: 2
; COMPUTE_PGM_RSRC2:TRAP_HANDLER: 0
; COMPUTE_PGM_RSRC2:TGID_X_EN: 1
; COMPUTE_PGM_RSRC2:TGID_Y_EN: 0
; COMPUTE_PGM_RSRC2:TGID_Z_EN: 0
; COMPUTE_PGM_RSRC2:TIDIG_COMP_CNT: 0
	.section	.text._ZN9rocsparseL35csrgemm_symbolic_group_reduce_part2ILj256ELj11EiiEEvT2_PKT1_PS1_Pij,"axG",@progbits,_ZN9rocsparseL35csrgemm_symbolic_group_reduce_part2ILj256ELj11EiiEEvT2_PKT1_PS1_Pij,comdat
	.globl	_ZN9rocsparseL35csrgemm_symbolic_group_reduce_part2ILj256ELj11EiiEEvT2_PKT1_PS1_Pij ; -- Begin function _ZN9rocsparseL35csrgemm_symbolic_group_reduce_part2ILj256ELj11EiiEEvT2_PKT1_PS1_Pij
	.p2align	8
	.type	_ZN9rocsparseL35csrgemm_symbolic_group_reduce_part2ILj256ELj11EiiEEvT2_PKT1_PS1_Pij,@function
_ZN9rocsparseL35csrgemm_symbolic_group_reduce_part2ILj256ELj11EiiEEvT2_PKT1_PS1_Pij: ; @_ZN9rocsparseL35csrgemm_symbolic_group_reduce_part2ILj256ELj11EiiEEvT2_PKT1_PS1_Pij
; %bb.0:
	s_bfe_u32 s2, ttmp6, 0x4000c
	s_load_b32 s10, s[0:1], 0x0
	s_add_co_i32 s5, s2, 1
	s_load_b64 s[2:3], s[0:1], 0x10
	s_and_b32 s4, ttmp6, 15
	s_mul_i32 s5, ttmp9, s5
	s_getreg_b32 s6, hwreg(HW_REG_IB_STS2, 6, 4)
	s_add_co_i32 s4, s4, s5
	s_cmp_eq_u32 s6, 0
	v_mov_b32_e32 v6, 0
	s_cselect_b32 s7, ttmp9, s4
	v_mul_u32_u24_e32 v1, 44, v0
	v_lshl_or_b32 v2, s7, 8, v0
	s_mov_b32 s11, 0
	s_mov_b32 s12, exec_lo
	ds_store_2addr_b32 v1, v6, v6 offset1:1
	ds_store_2addr_b32 v1, v6, v6 offset0:2 offset1:3
	ds_store_2addr_b32 v1, v6, v6 offset0:4 offset1:5
	;; [unrolled: 1-line block ×4, first 2 shown]
	ds_store_b32 v1, v6 offset:40
	s_wait_dscnt 0x0
	s_wait_kmcnt 0x0
	v_cmpx_gt_i32_e64 s10, v2
	s_cbranch_execz .LBB2_43
; %bb.1:
	s_clause 0x2
	s_load_b96 s[4:6], s[0:1], 0x18
	s_load_b32 s13, s[0:1], 0x28
	s_load_b64 s[8:9], s[0:1], 0x8
	v_dual_mov_b32 v7, 6 :: v_dual_mov_b32 v8, 7
	v_dual_mov_b32 v9, 8 :: v_dual_mov_b32 v10, 9
	;; [unrolled: 1-line block ×5, first 2 shown]
	s_wait_kmcnt 0x0
	s_cmp_lt_u32 s6, 0x4084
	s_cselect_b32 s1, -1, 0
	s_cmp_lt_u32 s6, 0x8084
	s_cselect_b32 s14, -1, 0
	;; [unrolled: 2-line block ×4, first 2 shown]
	s_lshl_b32 s0, s13, 8
	s_xor_b32 s1, s1, -1
	s_xor_b32 s6, s14, -1
	;; [unrolled: 1-line block ×4, first 2 shown]
	s_branch .LBB2_3
.LBB2_2:                                ;   in Loop: Header=BB2_3 Depth=1
	s_wait_xcnt 0x0
	s_or_b32 exec_lo, exec_lo, s15
	v_add_nc_u32_e32 v2, s0, v2
	s_delay_alu instid0(VALU_DEP_1) | instskip(SKIP_1) | instid1(SALU_CYCLE_1)
	v_cmp_le_i32_e32 vcc_lo, s10, v2
	s_or_b32 s11, vcc_lo, s11
	s_and_not1_b32 exec_lo, exec_lo, s11
	s_cbranch_execz .LBB2_43
.LBB2_3:                                ; =>This Inner Loop Header: Depth=1
	v_ashrrev_i32_e32 v3, 31, v2
	s_mov_b32 s15, exec_lo
	s_delay_alu instid0(VALU_DEP_1) | instskip(SKIP_4) | instid1(VALU_DEP_1)
	v_lshl_add_u64 v[4:5], v[2:3], 2, s[8:9]
	global_load_b64 v[4:5], v[4:5], off
	s_wait_loadcnt 0x0
	s_wait_xcnt 0x0
	v_sub_nc_u32_e32 v4, v5, v4
	v_cmpx_lt_i32_e32 16, v4
	s_xor_b32 s15, exec_lo, s15
	s_cbranch_execz .LBB2_41
; %bb.4:                                ;   in Loop: Header=BB2_3 Depth=1
	s_mov_b32 s16, exec_lo
	v_cmpx_lt_u32_e32 32, v4
	s_xor_b32 s16, exec_lo, s16
	s_cbranch_execz .LBB2_38
; %bb.5:                                ;   in Loop: Header=BB2_3 Depth=1
	s_mov_b32 s17, exec_lo
	v_cmpx_lt_u32_e32 0x100, v4
	;; [unrolled: 5-line block ×5, first 2 shown]
	s_xor_b32 s20, exec_lo, s20
	s_cbranch_execz .LBB2_26
; %bb.9:                                ;   in Loop: Header=BB2_3 Depth=1
	v_cmp_gt_u32_e32 vcc_lo, 0x1001, v4
	s_and_b32 s21, s1, vcc_lo
	s_delay_alu instid0(SALU_CYCLE_1) | instskip(NEXT) | instid1(SALU_CYCLE_1)
	s_and_saveexec_b32 s22, s21
	s_xor_b32 s21, exec_lo, s22
	s_cbranch_execz .LBB2_11
; %bb.10:                               ;   in Loop: Header=BB2_3 Depth=1
	ds_load_b32 v4, v1 offset:24
	s_wait_dscnt 0x0
	v_add_nc_u32_e32 v17, 1, v4
	v_lshl_add_u64 v[4:5], v[2:3], 2, s[4:5]
	ds_store_b32 v1, v17 offset:24
	global_store_b32 v[4:5], v7, off
                                        ; implicit-def: $vgpr4
.LBB2_11:                               ;   in Loop: Header=BB2_3 Depth=1
	s_wait_xcnt 0x0
	s_and_not1_saveexec_b32 s21, s21
	s_cbranch_execz .LBB2_25
; %bb.12:                               ;   in Loop: Header=BB2_3 Depth=1
	v_cmp_gt_u32_e32 vcc_lo, 0x2001, v4
	s_and_b32 s22, s6, vcc_lo
	s_delay_alu instid0(SALU_CYCLE_1) | instskip(NEXT) | instid1(SALU_CYCLE_1)
	s_and_saveexec_b32 s23, s22
	s_xor_b32 s22, exec_lo, s23
	s_cbranch_execz .LBB2_14
; %bb.13:                               ;   in Loop: Header=BB2_3 Depth=1
	ds_load_b32 v4, v1 offset:28
	s_wait_dscnt 0x0
	v_add_nc_u32_e32 v17, 1, v4
	v_lshl_add_u64 v[4:5], v[2:3], 2, s[4:5]
	ds_store_b32 v1, v17 offset:28
	global_store_b32 v[4:5], v8, off
                                        ; implicit-def: $vgpr4
.LBB2_14:                               ;   in Loop: Header=BB2_3 Depth=1
	s_wait_xcnt 0x0
	s_and_not1_saveexec_b32 s22, s22
	s_cbranch_execz .LBB2_24
; %bb.15:                               ;   in Loop: Header=BB2_3 Depth=1
	;; [unrolled: 19-line block ×3, first 2 shown]
	v_cmp_gt_u32_e32 vcc_lo, 0x8001, v4
	v_lshl_add_u64 v[4:5], v[2:3], 2, s[4:5]
	s_and_b32 s24, s14, vcc_lo
	s_delay_alu instid0(SALU_CYCLE_1) | instskip(NEXT) | instid1(SALU_CYCLE_1)
	s_and_saveexec_b32 s25, s24
	s_xor_b32 s24, exec_lo, s25
	s_cbranch_execz .LBB2_20
; %bb.19:                               ;   in Loop: Header=BB2_3 Depth=1
	ds_load_b32 v17, v1 offset:36
	global_store_b32 v[4:5], v10, off
                                        ; implicit-def: $vgpr4_vgpr5
	s_wait_dscnt 0x0
	v_add_nc_u32_e32 v17, 1, v17
	ds_store_b32 v1, v17 offset:36
.LBB2_20:                               ;   in Loop: Header=BB2_3 Depth=1
	s_wait_xcnt 0x0
	s_and_not1_saveexec_b32 s24, s24
	s_cbranch_execz .LBB2_22
; %bb.21:                               ;   in Loop: Header=BB2_3 Depth=1
	ds_load_b32 v17, v1 offset:40
	global_store_b32 v[4:5], v11, off
	s_wait_dscnt 0x0
	v_add_nc_u32_e32 v17, 1, v17
	ds_store_b32 v1, v17 offset:40
.LBB2_22:                               ;   in Loop: Header=BB2_3 Depth=1
	s_wait_xcnt 0x0
	s_or_b32 exec_lo, exec_lo, s24
.LBB2_23:                               ;   in Loop: Header=BB2_3 Depth=1
	s_delay_alu instid0(SALU_CYCLE_1)
	s_or_b32 exec_lo, exec_lo, s23
.LBB2_24:                               ;   in Loop: Header=BB2_3 Depth=1
	s_delay_alu instid0(SALU_CYCLE_1)
	s_or_b32 exec_lo, exec_lo, s22
.LBB2_25:                               ;   in Loop: Header=BB2_3 Depth=1
	s_delay_alu instid0(SALU_CYCLE_1)
	s_or_b32 exec_lo, exec_lo, s21
.LBB2_26:                               ;   in Loop: Header=BB2_3 Depth=1
	s_and_not1_saveexec_b32 s20, s20
	s_cbranch_execz .LBB2_28
; %bb.27:                               ;   in Loop: Header=BB2_3 Depth=1
	ds_load_b32 v4, v1 offset:20
	s_wait_dscnt 0x0
	v_add_nc_u32_e32 v17, 1, v4
	v_lshl_add_u64 v[4:5], v[2:3], 2, s[4:5]
	ds_store_b32 v1, v17 offset:20
	global_store_b32 v[4:5], v12, off
.LBB2_28:                               ;   in Loop: Header=BB2_3 Depth=1
	s_wait_xcnt 0x0
	s_or_b32 exec_lo, exec_lo, s20
.LBB2_29:                               ;   in Loop: Header=BB2_3 Depth=1
	s_and_not1_saveexec_b32 s19, s19
	s_cbranch_execz .LBB2_31
; %bb.30:                               ;   in Loop: Header=BB2_3 Depth=1
	ds_load_b32 v4, v1 offset:16
	s_wait_dscnt 0x0
	v_add_nc_u32_e32 v17, 1, v4
	v_lshl_add_u64 v[4:5], v[2:3], 2, s[4:5]
	ds_store_b32 v1, v17 offset:16
	global_store_b32 v[4:5], v13, off
.LBB2_31:                               ;   in Loop: Header=BB2_3 Depth=1
	s_wait_xcnt 0x0
	s_or_b32 exec_lo, exec_lo, s19
.LBB2_32:                               ;   in Loop: Header=BB2_3 Depth=1
	s_and_not1_saveexec_b32 s18, s18
	s_cbranch_execz .LBB2_34
; %bb.33:                               ;   in Loop: Header=BB2_3 Depth=1
	ds_load_b32 v4, v1 offset:12
	s_wait_dscnt 0x0
	v_add_nc_u32_e32 v17, 1, v4
	v_lshl_add_u64 v[4:5], v[2:3], 2, s[4:5]
	ds_store_b32 v1, v17 offset:12
	global_store_b32 v[4:5], v14, off
.LBB2_34:                               ;   in Loop: Header=BB2_3 Depth=1
	s_wait_xcnt 0x0
	s_or_b32 exec_lo, exec_lo, s18
.LBB2_35:                               ;   in Loop: Header=BB2_3 Depth=1
	s_and_not1_saveexec_b32 s17, s17
	s_cbranch_execz .LBB2_37
; %bb.36:                               ;   in Loop: Header=BB2_3 Depth=1
	ds_load_b32 v4, v1 offset:8
	s_wait_dscnt 0x0
	v_add_nc_u32_e32 v17, 1, v4
	v_lshl_add_u64 v[4:5], v[2:3], 2, s[4:5]
	ds_store_b32 v1, v17 offset:8
	global_store_b32 v[4:5], v15, off
.LBB2_37:                               ;   in Loop: Header=BB2_3 Depth=1
	s_wait_xcnt 0x0
	s_or_b32 exec_lo, exec_lo, s17
.LBB2_38:                               ;   in Loop: Header=BB2_3 Depth=1
	s_and_not1_saveexec_b32 s16, s16
	s_cbranch_execz .LBB2_40
; %bb.39:                               ;   in Loop: Header=BB2_3 Depth=1
	ds_load_b32 v4, v1 offset:4
	s_wait_dscnt 0x0
	v_add_nc_u32_e32 v17, 1, v4
	v_lshl_add_u64 v[4:5], v[2:3], 2, s[4:5]
	ds_store_b32 v1, v17 offset:4
	global_store_b32 v[4:5], v16, off
.LBB2_40:                               ;   in Loop: Header=BB2_3 Depth=1
	s_wait_xcnt 0x0
	s_or_b32 exec_lo, exec_lo, s16
.LBB2_41:                               ;   in Loop: Header=BB2_3 Depth=1
	s_and_not1_saveexec_b32 s15, s15
	s_cbranch_execz .LBB2_2
; %bb.42:                               ;   in Loop: Header=BB2_3 Depth=1
	ds_load_b32 v4, v1
	s_wait_dscnt 0x0
	v_add_nc_u32_e32 v17, 1, v4
	v_lshl_add_u64 v[4:5], v[2:3], 2, s[4:5]
	ds_store_b32 v1, v17
	global_store_b32 v[4:5], v6, off
	s_branch .LBB2_2
.LBB2_43:
	s_or_b32 exec_lo, exec_lo, s12
	s_delay_alu instid0(SALU_CYCLE_1)
	s_mov_b32 s0, exec_lo
	s_wait_storecnt_dscnt 0x0
	s_barrier_signal -1
	s_barrier_wait -1
	s_barrier_signal -1
	s_barrier_wait -1
	;; [unrolled: 2-line block ×3, first 2 shown]
	v_cmpx_gt_u32_e32 0x80, v0
	s_cbranch_execz .LBB2_45
; %bb.44:
	v_add_nc_u32_e32 v4, 0x1600, v1
	v_add_nc_u32_e32 v6, 0x1608, v1
	;; [unrolled: 1-line block ×4, first 2 shown]
	ds_load_2addr_b32 v[2:3], v1 offset1:1
	ds_load_2addr_b32 v[4:5], v4 offset1:1
	;; [unrolled: 1-line block ×4, first 2 shown]
	v_add_nc_u32_e32 v18, 0x1620, v1
	ds_load_2addr_b32 v[10:11], v1 offset0:2 offset1:3
	ds_load_2addr_b32 v[12:13], v1 offset0:4 offset1:5
	;; [unrolled: 1-line block ×3, first 2 shown]
	s_wait_dscnt 0x5
	v_dual_add_nc_u32 v22, 40, v1 :: v_dual_add_nc_u32 v2, v2, v4
	ds_load_2addr_b32 v[16:17], v16 offset1:1
	ds_load_2addr_b32 v[18:19], v18 offset1:1
	ds_load_2addr_b32 v[20:21], v1 offset0:8 offset1:9
	ds_load_2addr_stride64_b32 v[22:23], v22 offset1:22
	s_wait_dscnt 0x6
	v_dual_add_nc_u32 v3, v3, v5 :: v_dual_add_nc_u32 v5, v10, v6
	s_wait_dscnt 0x5
	v_dual_add_nc_u32 v4, v11, v7 :: v_dual_add_nc_u32 v6, v13, v9
	;; [unrolled: 2-line block ×5, first 2 shown]
	ds_store_2addr_b32 v1, v2, v3 offset1:1
	ds_store_2addr_b32 v1, v5, v4 offset0:2 offset1:3
	ds_store_2addr_b32 v1, v7, v6 offset0:4 offset1:5
	;; [unrolled: 1-line block ×4, first 2 shown]
	ds_store_b32 v1, v12 offset:40
.LBB2_45:
	s_or_b32 exec_lo, exec_lo, s0
	s_delay_alu instid0(SALU_CYCLE_1)
	s_mov_b32 s0, exec_lo
	s_wait_dscnt 0x0
	s_barrier_signal -1
	s_barrier_wait -1
	v_cmpx_gt_u32_e32 64, v0
	s_cbranch_execz .LBB2_47
; %bb.46:
	v_add_nc_u32_e32 v4, 0xb00, v1
	v_add_nc_u32_e32 v6, 0xb08, v1
	;; [unrolled: 1-line block ×4, first 2 shown]
	ds_load_2addr_b32 v[2:3], v1 offset1:1
	ds_load_2addr_b32 v[4:5], v4 offset1:1
	;; [unrolled: 1-line block ×4, first 2 shown]
	v_add_nc_u32_e32 v18, 0xb20, v1
	ds_load_2addr_b32 v[10:11], v1 offset0:2 offset1:3
	ds_load_2addr_b32 v[12:13], v1 offset0:4 offset1:5
	;; [unrolled: 1-line block ×3, first 2 shown]
	s_wait_dscnt 0x5
	v_dual_add_nc_u32 v22, 40, v1 :: v_dual_add_nc_u32 v2, v2, v4
	ds_load_2addr_b32 v[16:17], v16 offset1:1
	ds_load_2addr_b32 v[18:19], v18 offset1:1
	ds_load_2addr_b32 v[20:21], v1 offset0:8 offset1:9
	ds_load_2addr_stride64_b32 v[22:23], v22 offset1:11
	s_wait_dscnt 0x6
	v_dual_add_nc_u32 v3, v3, v5 :: v_dual_add_nc_u32 v5, v10, v6
	s_wait_dscnt 0x5
	v_dual_add_nc_u32 v4, v11, v7 :: v_dual_add_nc_u32 v6, v13, v9
	;; [unrolled: 2-line block ×5, first 2 shown]
	ds_store_2addr_b32 v1, v2, v3 offset1:1
	ds_store_2addr_b32 v1, v5, v4 offset0:2 offset1:3
	ds_store_2addr_b32 v1, v7, v6 offset0:4 offset1:5
	;; [unrolled: 1-line block ×4, first 2 shown]
	ds_store_b32 v1, v12 offset:40
.LBB2_47:
	s_or_b32 exec_lo, exec_lo, s0
	s_delay_alu instid0(SALU_CYCLE_1)
	s_mov_b32 s0, exec_lo
	s_wait_dscnt 0x0
	s_barrier_signal -1
	s_barrier_wait -1
	v_cmpx_gt_u32_e32 32, v0
	s_cbranch_execz .LBB2_49
; %bb.48:
	v_add_nc_u32_e32 v6, 0x580, v1
	v_add_nc_u32_e32 v8, 0x588, v1
	ds_load_2addr_b32 v[2:3], v1 offset1:1
	ds_load_2addr_b32 v[4:5], v1 offset0:2 offset1:3
	v_add_nc_u32_e32 v10, 0x590, v1
	v_add_nc_u32_e32 v16, 0x598, v1
	ds_load_2addr_b32 v[6:7], v6 offset1:1
	v_add_nc_u32_e32 v18, 0x5a0, v1
	ds_load_2addr_b32 v[8:9], v8 offset1:1
	ds_load_2addr_b32 v[10:11], v10 offset1:1
	ds_load_2addr_b32 v[12:13], v1 offset0:4 offset1:5
	ds_load_2addr_b32 v[14:15], v1 offset0:6 offset1:7
	ds_load_2addr_b32 v[16:17], v16 offset1:1
	ds_load_2addr_b32 v[18:19], v18 offset1:1
	ds_load_2addr_b32 v[20:21], v1 offset0:8 offset1:9
	ds_load_b32 v22, v1 offset:1448
	ds_load_b32 v23, v1 offset:40
	s_wait_dscnt 0x8
	v_dual_add_nc_u32 v5, v5, v9 :: v_dual_add_nc_u32 v4, v4, v8
	s_wait_dscnt 0x4
	v_dual_add_nc_u32 v8, v15, v17 :: v_dual_add_nc_u32 v9, v14, v16
	v_dual_add_nc_u32 v3, v3, v7 :: v_dual_add_nc_u32 v2, v2, v6
	;; [unrolled: 1-line block ×3, first 2 shown]
	s_wait_dscnt 0x2
	v_dual_add_nc_u32 v10, v21, v19 :: v_dual_add_nc_u32 v11, v20, v18
	s_wait_dscnt 0x0
	v_add_nc_u32_e32 v12, v23, v22
	ds_store_2addr_b32 v1, v2, v3 offset1:1
	ds_store_2addr_b32 v1, v4, v5 offset0:2 offset1:3
	ds_store_2addr_b32 v1, v7, v6 offset0:4 offset1:5
	ds_store_2addr_b32 v1, v9, v8 offset0:6 offset1:7
	ds_store_2addr_b32 v1, v11, v10 offset0:8 offset1:9
	ds_store_b32 v1, v12 offset:40
.LBB2_49:
	s_or_b32 exec_lo, exec_lo, s0
	s_delay_alu instid0(SALU_CYCLE_1)
	s_mov_b32 s0, exec_lo
	s_wait_dscnt 0x0
	s_barrier_signal -1
	s_barrier_wait -1
	v_cmpx_gt_u32_e32 16, v0
	s_cbranch_execz .LBB2_51
; %bb.50:
	ds_load_2addr_b32 v[2:3], v1 offset0:176 offset1:177
	ds_load_2addr_b32 v[4:5], v1 offset1:1
	ds_load_2addr_b32 v[6:7], v1 offset0:2 offset1:3
	ds_load_2addr_b32 v[8:9], v1 offset0:178 offset1:179
	ds_load_2addr_b32 v[10:11], v1 offset0:180 offset1:181
	ds_load_2addr_b32 v[12:13], v1 offset0:4 offset1:5
	ds_load_2addr_b32 v[14:15], v1 offset0:6 offset1:7
	ds_load_2addr_b32 v[16:17], v1 offset0:182 offset1:183
	ds_load_2addr_b32 v[18:19], v1 offset0:184 offset1:185
	ds_load_2addr_b32 v[20:21], v1 offset0:8 offset1:9
	ds_load_2addr_b32 v[22:23], v1 offset0:10 offset1:186
	s_wait_dscnt 0x9
	v_dual_add_nc_u32 v3, v5, v3 :: v_dual_add_nc_u32 v2, v4, v2
	s_wait_dscnt 0x7
	v_dual_add_nc_u32 v4, v7, v9 :: v_dual_add_nc_u32 v5, v6, v8
	s_wait_dscnt 0x5
	v_dual_add_nc_u32 v6, v13, v11 :: v_dual_add_nc_u32 v7, v12, v10
	s_wait_dscnt 0x3
	v_dual_add_nc_u32 v8, v15, v17 :: v_dual_add_nc_u32 v9, v14, v16
	s_wait_dscnt 0x1
	v_dual_add_nc_u32 v10, v21, v19 :: v_dual_add_nc_u32 v11, v20, v18
	s_wait_dscnt 0x0
	v_add_nc_u32_e32 v12, v22, v23
	ds_store_2addr_b32 v1, v2, v3 offset1:1
	ds_store_2addr_b32 v1, v5, v4 offset0:2 offset1:3
	ds_store_2addr_b32 v1, v7, v6 offset0:4 offset1:5
	ds_store_2addr_b32 v1, v9, v8 offset0:6 offset1:7
	ds_store_2addr_b32 v1, v11, v10 offset0:8 offset1:9
	ds_store_b32 v1, v12 offset:40
.LBB2_51:
	s_or_b32 exec_lo, exec_lo, s0
	s_delay_alu instid0(SALU_CYCLE_1)
	s_mov_b32 s0, exec_lo
	s_wait_dscnt 0x0
	s_barrier_signal -1
	s_barrier_wait -1
	v_cmpx_gt_u32_e32 8, v0
	s_cbranch_execz .LBB2_53
; %bb.52:
	ds_load_2addr_b32 v[2:3], v1 offset0:88 offset1:89
	ds_load_2addr_b32 v[4:5], v1 offset1:1
	ds_load_2addr_b32 v[6:7], v1 offset0:2 offset1:3
	ds_load_2addr_b32 v[8:9], v1 offset0:90 offset1:91
	ds_load_2addr_b32 v[10:11], v1 offset0:92 offset1:93
	ds_load_2addr_b32 v[12:13], v1 offset0:4 offset1:5
	ds_load_2addr_b32 v[14:15], v1 offset0:6 offset1:7
	ds_load_2addr_b32 v[16:17], v1 offset0:94 offset1:95
	ds_load_2addr_b32 v[18:19], v1 offset0:96 offset1:97
	ds_load_2addr_b32 v[20:21], v1 offset0:8 offset1:9
	ds_load_2addr_b32 v[22:23], v1 offset0:10 offset1:98
	s_wait_dscnt 0x9
	v_dual_add_nc_u32 v3, v5, v3 :: v_dual_add_nc_u32 v2, v4, v2
	s_wait_dscnt 0x7
	v_dual_add_nc_u32 v4, v7, v9 :: v_dual_add_nc_u32 v5, v6, v8
	s_wait_dscnt 0x5
	v_dual_add_nc_u32 v6, v13, v11 :: v_dual_add_nc_u32 v7, v12, v10
	s_wait_dscnt 0x3
	v_dual_add_nc_u32 v8, v15, v17 :: v_dual_add_nc_u32 v9, v14, v16
	s_wait_dscnt 0x1
	v_dual_add_nc_u32 v10, v21, v19 :: v_dual_add_nc_u32 v11, v20, v18
	s_wait_dscnt 0x0
	v_add_nc_u32_e32 v12, v22, v23
	ds_store_2addr_b32 v1, v2, v3 offset1:1
	ds_store_2addr_b32 v1, v5, v4 offset0:2 offset1:3
	ds_store_2addr_b32 v1, v7, v6 offset0:4 offset1:5
	ds_store_2addr_b32 v1, v9, v8 offset0:6 offset1:7
	ds_store_2addr_b32 v1, v11, v10 offset0:8 offset1:9
	ds_store_b32 v1, v12 offset:40
.LBB2_53:
	;; [unrolled: 39-line block ×4, first 2 shown]
	s_or_b32 exec_lo, exec_lo, s0
	s_delay_alu instid0(SALU_CYCLE_1)
	s_mov_b32 s0, exec_lo
	s_wait_dscnt 0x0
	s_barrier_signal -1
	s_barrier_wait -1
	v_cmpx_eq_u32_e32 0, v0
	s_cbranch_execz .LBB2_59
; %bb.58:
	v_mov_b32_e32 v1, 0
	ds_load_2addr_b32 v[14:15], v1 offset0:11 offset1:12
	ds_load_b128 v[2:5], v1
	ds_load_2addr_b32 v[16:17], v1 offset0:13 offset1:14
	ds_load_b128 v[6:9], v1 offset:16
	ds_load_2addr_b32 v[18:19], v1 offset0:15 offset1:16
	ds_load_2addr_b32 v[20:21], v1 offset0:17 offset1:18
	ds_load_b96 v[10:12], v1 offset:32
	ds_load_2addr_b32 v[22:23], v1 offset0:19 offset1:20
	ds_load_b32 v13, v1 offset:84
	s_wait_dscnt 0x7
	v_dual_add_nc_u32 v3, v3, v15 :: v_dual_add_nc_u32 v2, v2, v14
	s_wait_dscnt 0x6
	v_dual_add_nc_u32 v5, v5, v17 :: v_dual_add_nc_u32 v4, v4, v16
	;; [unrolled: 2-line block ×5, first 2 shown]
	s_wait_dscnt 0x0
	v_add_nc_u32_e32 v12, v12, v13
	ds_store_b128 v1, v[2:5]
	ds_store_b128 v1, v[6:9] offset:16
	ds_store_b96 v1, v[10:12] offset:32
.LBB2_59:
	s_or_b32 exec_lo, exec_lo, s0
	s_wait_dscnt 0x0
	s_barrier_signal -1
	s_barrier_wait -1
	s_mov_b32 s0, exec_lo
	v_cmpx_gt_u32_e32 11, v0
	s_cbranch_execz .LBB2_61
; %bb.60:
	v_lshlrev_b32_e32 v1, 2, v0
	v_mad_u32 v0, s7, 11, v0
	ds_load_b32 v1, v1
	s_wait_dscnt 0x0
	global_store_b32 v0, v1, s[2:3] scale_offset
.LBB2_61:
	s_endpgm
	.section	.rodata,"a",@progbits
	.p2align	6, 0x0
	.amdhsa_kernel _ZN9rocsparseL35csrgemm_symbolic_group_reduce_part2ILj256ELj11EiiEEvT2_PKT1_PS1_Pij
		.amdhsa_group_segment_fixed_size 11264
		.amdhsa_private_segment_fixed_size 0
		.amdhsa_kernarg_size 296
		.amdhsa_user_sgpr_count 2
		.amdhsa_user_sgpr_dispatch_ptr 0
		.amdhsa_user_sgpr_queue_ptr 0
		.amdhsa_user_sgpr_kernarg_segment_ptr 1
		.amdhsa_user_sgpr_dispatch_id 0
		.amdhsa_user_sgpr_kernarg_preload_length 0
		.amdhsa_user_sgpr_kernarg_preload_offset 0
		.amdhsa_user_sgpr_private_segment_size 0
		.amdhsa_wavefront_size32 1
		.amdhsa_uses_dynamic_stack 0
		.amdhsa_enable_private_segment 0
		.amdhsa_system_sgpr_workgroup_id_x 1
		.amdhsa_system_sgpr_workgroup_id_y 0
		.amdhsa_system_sgpr_workgroup_id_z 0
		.amdhsa_system_sgpr_workgroup_info 0
		.amdhsa_system_vgpr_workitem_id 0
		.amdhsa_next_free_vgpr 24
		.amdhsa_next_free_sgpr 26
		.amdhsa_named_barrier_count 0
		.amdhsa_reserve_vcc 1
		.amdhsa_float_round_mode_32 0
		.amdhsa_float_round_mode_16_64 0
		.amdhsa_float_denorm_mode_32 3
		.amdhsa_float_denorm_mode_16_64 3
		.amdhsa_fp16_overflow 0
		.amdhsa_memory_ordered 1
		.amdhsa_forward_progress 1
		.amdhsa_inst_pref_size 28
		.amdhsa_round_robin_scheduling 0
		.amdhsa_exception_fp_ieee_invalid_op 0
		.amdhsa_exception_fp_denorm_src 0
		.amdhsa_exception_fp_ieee_div_zero 0
		.amdhsa_exception_fp_ieee_overflow 0
		.amdhsa_exception_fp_ieee_underflow 0
		.amdhsa_exception_fp_ieee_inexact 0
		.amdhsa_exception_int_div_zero 0
	.end_amdhsa_kernel
	.section	.text._ZN9rocsparseL35csrgemm_symbolic_group_reduce_part2ILj256ELj11EiiEEvT2_PKT1_PS1_Pij,"axG",@progbits,_ZN9rocsparseL35csrgemm_symbolic_group_reduce_part2ILj256ELj11EiiEEvT2_PKT1_PS1_Pij,comdat
.Lfunc_end2:
	.size	_ZN9rocsparseL35csrgemm_symbolic_group_reduce_part2ILj256ELj11EiiEEvT2_PKT1_PS1_Pij, .Lfunc_end2-_ZN9rocsparseL35csrgemm_symbolic_group_reduce_part2ILj256ELj11EiiEEvT2_PKT1_PS1_Pij
                                        ; -- End function
	.set _ZN9rocsparseL35csrgemm_symbolic_group_reduce_part2ILj256ELj11EiiEEvT2_PKT1_PS1_Pij.num_vgpr, 24
	.set _ZN9rocsparseL35csrgemm_symbolic_group_reduce_part2ILj256ELj11EiiEEvT2_PKT1_PS1_Pij.num_agpr, 0
	.set _ZN9rocsparseL35csrgemm_symbolic_group_reduce_part2ILj256ELj11EiiEEvT2_PKT1_PS1_Pij.numbered_sgpr, 26
	.set _ZN9rocsparseL35csrgemm_symbolic_group_reduce_part2ILj256ELj11EiiEEvT2_PKT1_PS1_Pij.num_named_barrier, 0
	.set _ZN9rocsparseL35csrgemm_symbolic_group_reduce_part2ILj256ELj11EiiEEvT2_PKT1_PS1_Pij.private_seg_size, 0
	.set _ZN9rocsparseL35csrgemm_symbolic_group_reduce_part2ILj256ELj11EiiEEvT2_PKT1_PS1_Pij.uses_vcc, 1
	.set _ZN9rocsparseL35csrgemm_symbolic_group_reduce_part2ILj256ELj11EiiEEvT2_PKT1_PS1_Pij.uses_flat_scratch, 0
	.set _ZN9rocsparseL35csrgemm_symbolic_group_reduce_part2ILj256ELj11EiiEEvT2_PKT1_PS1_Pij.has_dyn_sized_stack, 0
	.set _ZN9rocsparseL35csrgemm_symbolic_group_reduce_part2ILj256ELj11EiiEEvT2_PKT1_PS1_Pij.has_recursion, 0
	.set _ZN9rocsparseL35csrgemm_symbolic_group_reduce_part2ILj256ELj11EiiEEvT2_PKT1_PS1_Pij.has_indirect_call, 0
	.section	.AMDGPU.csdata,"",@progbits
; Kernel info:
; codeLenInByte = 3468
; TotalNumSgprs: 28
; NumVgprs: 24
; ScratchSize: 0
; MemoryBound: 0
; FloatMode: 240
; IeeeMode: 1
; LDSByteSize: 11264 bytes/workgroup (compile time only)
; SGPRBlocks: 0
; VGPRBlocks: 1
; NumSGPRsForWavesPerEU: 28
; NumVGPRsForWavesPerEU: 24
; NamedBarCnt: 0
; Occupancy: 16
; WaveLimiterHint : 0
; COMPUTE_PGM_RSRC2:SCRATCH_EN: 0
; COMPUTE_PGM_RSRC2:USER_SGPR: 2
; COMPUTE_PGM_RSRC2:TRAP_HANDLER: 0
; COMPUTE_PGM_RSRC2:TGID_X_EN: 1
; COMPUTE_PGM_RSRC2:TGID_Y_EN: 0
; COMPUTE_PGM_RSRC2:TGID_Z_EN: 0
; COMPUTE_PGM_RSRC2:TIDIG_COMP_CNT: 0
	.section	.text._ZN9rocsparseL35csrgemm_symbolic_group_reduce_part3ILj256ELj11EiEEvPT1_,"axG",@progbits,_ZN9rocsparseL35csrgemm_symbolic_group_reduce_part3ILj256ELj11EiEEvPT1_,comdat
	.globl	_ZN9rocsparseL35csrgemm_symbolic_group_reduce_part3ILj256ELj11EiEEvPT1_ ; -- Begin function _ZN9rocsparseL35csrgemm_symbolic_group_reduce_part3ILj256ELj11EiEEvPT1_
	.p2align	8
	.type	_ZN9rocsparseL35csrgemm_symbolic_group_reduce_part3ILj256ELj11EiEEvPT1_,@function
_ZN9rocsparseL35csrgemm_symbolic_group_reduce_part3ILj256ELj11EiEEvPT1_: ; @_ZN9rocsparseL35csrgemm_symbolic_group_reduce_part3ILj256ELj11EiEEvPT1_
; %bb.0:
	s_load_b64 s[0:1], s[0:1], 0x0
	v_dual_mov_b32 v3, 0 :: v_dual_lshlrev_b32 v2, 2, v0
	v_or_b32_e32 v1, 0xffffff00, v0
	s_mov_b32 s2, 0
	s_wait_kmcnt 0x0
	s_delay_alu instid0(VALU_DEP_2)
	v_add_nc_u64_e32 v[4:5], s[0:1], v[2:3]
.LBB3_1:                                ; =>This Inner Loop Header: Depth=1
	global_load_b32 v3, v[4:5], off
	v_add_nc_u32_e32 v1, 0x100, v1
	s_wait_xcnt 0x0
	v_add_nc_u64_e32 v[4:5], 0x400, v[4:5]
	s_delay_alu instid0(VALU_DEP_2)
	v_cmp_lt_u32_e32 vcc_lo, 0x9ff, v1
	s_or_b32 s2, vcc_lo, s2
	s_wait_loadcnt 0x0
	ds_store_b32 v2, v3
	v_add_nc_u32_e32 v2, 0x400, v2
	s_and_not1_b32 exec_lo, exec_lo, s2
	s_cbranch_execnz .LBB3_1
; %bb.2:
	s_or_b32 exec_lo, exec_lo, s2
	v_mul_u32_u24_e32 v1, 44, v0
	s_mov_b32 s2, exec_lo
	s_wait_dscnt 0x0
	s_barrier_signal -1
	s_barrier_wait -1
	s_barrier_signal -1
	s_barrier_wait -1
	s_barrier_signal -1
	s_barrier_wait -1
	v_cmpx_gt_u32_e32 0x80, v0
	s_cbranch_execz .LBB3_4
; %bb.3:
	v_mad_u32_u24 v2, v0, 44, 0x1600
	v_mad_u32_u24 v10, v0, 44, 0x1608
	;; [unrolled: 1-line block ×5, first 2 shown]
	ds_load_2addr_b32 v[2:3], v2 offset1:1
	ds_load_2addr_b32 v[4:5], v1 offset1:1
	ds_load_2addr_b32 v[6:7], v1 offset0:2 offset1:3
	ds_load_2addr_b32 v[8:9], v1 offset0:4 offset1:5
	ds_load_2addr_b32 v[10:11], v10 offset1:1
	ds_load_2addr_b32 v[12:13], v12 offset1:1
	ds_load_2addr_b32 v[14:15], v14 offset1:1
	s_wait_dscnt 0x5
	v_dual_add_nc_u32 v22, 40, v1 :: v_dual_add_nc_u32 v3, v5, v3
	ds_load_2addr_b32 v[16:17], v1 offset0:6 offset1:7
	ds_load_2addr_b32 v[18:19], v18 offset1:1
	ds_load_2addr_b32 v[20:21], v1 offset0:8 offset1:9
	ds_load_2addr_stride64_b32 v[22:23], v22 offset1:22
	s_wait_dscnt 0x6
	v_dual_add_nc_u32 v2, v4, v2 :: v_dual_add_nc_u32 v4, v7, v11
	s_wait_dscnt 0x5
	v_dual_add_nc_u32 v5, v6, v10 :: v_dual_add_nc_u32 v6, v9, v13
	;; [unrolled: 2-line block ×5, first 2 shown]
	ds_store_2addr_b32 v1, v2, v3 offset1:1
	ds_store_2addr_b32 v1, v5, v4 offset0:2 offset1:3
	ds_store_2addr_b32 v1, v7, v6 offset0:4 offset1:5
	;; [unrolled: 1-line block ×4, first 2 shown]
	ds_store_b32 v1, v12 offset:40
.LBB3_4:
	s_or_b32 exec_lo, exec_lo, s2
	s_delay_alu instid0(SALU_CYCLE_1)
	s_mov_b32 s2, exec_lo
	s_wait_dscnt 0x0
	s_barrier_signal -1
	s_barrier_wait -1
	v_cmpx_gt_u32_e32 64, v0
	s_cbranch_execz .LBB3_6
; %bb.5:
	v_mad_u32_u24 v2, v0, 44, 0xb00
	v_mad_u32_u24 v10, v0, 44, 0xb08
	;; [unrolled: 1-line block ×5, first 2 shown]
	ds_load_2addr_b32 v[2:3], v2 offset1:1
	ds_load_2addr_b32 v[4:5], v1 offset1:1
	ds_load_2addr_b32 v[6:7], v1 offset0:2 offset1:3
	ds_load_2addr_b32 v[8:9], v1 offset0:4 offset1:5
	ds_load_2addr_b32 v[10:11], v10 offset1:1
	ds_load_2addr_b32 v[12:13], v12 offset1:1
	;; [unrolled: 1-line block ×3, first 2 shown]
	s_wait_dscnt 0x5
	v_dual_add_nc_u32 v22, 40, v1 :: v_dual_add_nc_u32 v3, v5, v3
	ds_load_2addr_b32 v[16:17], v1 offset0:6 offset1:7
	ds_load_2addr_b32 v[18:19], v18 offset1:1
	ds_load_2addr_b32 v[20:21], v1 offset0:8 offset1:9
	ds_load_2addr_stride64_b32 v[22:23], v22 offset1:11
	s_wait_dscnt 0x6
	v_dual_add_nc_u32 v2, v4, v2 :: v_dual_add_nc_u32 v4, v7, v11
	s_wait_dscnt 0x5
	v_dual_add_nc_u32 v5, v6, v10 :: v_dual_add_nc_u32 v6, v9, v13
	;; [unrolled: 2-line block ×5, first 2 shown]
	ds_store_2addr_b32 v1, v2, v3 offset1:1
	ds_store_2addr_b32 v1, v5, v4 offset0:2 offset1:3
	ds_store_2addr_b32 v1, v7, v6 offset0:4 offset1:5
	;; [unrolled: 1-line block ×4, first 2 shown]
	ds_store_b32 v1, v12 offset:40
.LBB3_6:
	s_or_b32 exec_lo, exec_lo, s2
	s_delay_alu instid0(SALU_CYCLE_1)
	s_mov_b32 s2, exec_lo
	s_wait_dscnt 0x0
	s_barrier_signal -1
	s_barrier_wait -1
	v_cmpx_gt_u32_e32 32, v0
	s_cbranch_execz .LBB3_8
; %bb.7:
	v_mad_u32_u24 v2, v0, 44, 0x580
	v_mad_u32_u24 v4, v0, 44, 0x588
	;; [unrolled: 1-line block ×5, first 2 shown]
	ds_load_2addr_b32 v[2:3], v2 offset1:1
	ds_load_2addr_b32 v[4:5], v4 offset1:1
	ds_load_b32 v22, v1 offset:1448
	ds_load_b32 v23, v1 offset:40
	ds_load_2addr_b32 v[6:7], v1 offset1:1
	ds_load_2addr_b32 v[8:9], v1 offset0:2 offset1:3
	ds_load_2addr_b32 v[10:11], v1 offset0:4 offset1:5
	ds_load_2addr_b32 v[12:13], v12 offset1:1
	ds_load_2addr_b32 v[14:15], v14 offset1:1
	ds_load_2addr_b32 v[16:17], v1 offset0:6 offset1:7
	ds_load_2addr_b32 v[18:19], v1 offset0:8 offset1:9
	ds_load_2addr_b32 v[20:21], v20 offset1:1
	s_wait_dscnt 0x8
	v_add_nc_u32_e32 v22, v23, v22
	s_wait_dscnt 0x7
	v_dual_add_nc_u32 v3, v7, v3 :: v_dual_add_nc_u32 v2, v6, v2
	s_wait_dscnt 0x6
	v_dual_add_nc_u32 v5, v9, v5 :: v_dual_add_nc_u32 v4, v8, v4
	;; [unrolled: 2-line block ×5, first 2 shown]
	ds_store_2addr_b32 v1, v2, v3 offset1:1
	ds_store_2addr_b32 v1, v4, v5 offset0:2 offset1:3
	ds_store_2addr_b32 v1, v7, v6 offset0:4 offset1:5
	;; [unrolled: 1-line block ×4, first 2 shown]
	ds_store_b32 v1, v22 offset:40
.LBB3_8:
	s_or_b32 exec_lo, exec_lo, s2
	s_delay_alu instid0(SALU_CYCLE_1)
	s_mov_b32 s2, exec_lo
	s_wait_dscnt 0x0
	s_barrier_signal -1
	s_barrier_wait -1
	v_cmpx_gt_u32_e32 16, v0
	s_cbranch_execz .LBB3_10
; %bb.9:
	ds_load_2addr_b32 v[2:3], v1 offset0:176 offset1:177
	ds_load_2addr_b32 v[4:5], v1 offset1:1
	ds_load_2addr_b32 v[6:7], v1 offset0:2 offset1:3
	ds_load_2addr_b32 v[8:9], v1 offset0:178 offset1:179
	ds_load_2addr_b32 v[10:11], v1 offset0:180 offset1:181
	ds_load_2addr_b32 v[12:13], v1 offset0:4 offset1:5
	ds_load_2addr_b32 v[14:15], v1 offset0:6 offset1:7
	ds_load_2addr_b32 v[16:17], v1 offset0:182 offset1:183
	ds_load_2addr_b32 v[18:19], v1 offset0:184 offset1:185
	ds_load_2addr_b32 v[20:21], v1 offset0:8 offset1:9
	ds_load_2addr_b32 v[22:23], v1 offset0:10 offset1:186
	s_wait_dscnt 0x9
	v_dual_add_nc_u32 v3, v5, v3 :: v_dual_add_nc_u32 v2, v4, v2
	s_wait_dscnt 0x7
	v_dual_add_nc_u32 v4, v7, v9 :: v_dual_add_nc_u32 v5, v6, v8
	s_wait_dscnt 0x5
	v_dual_add_nc_u32 v6, v13, v11 :: v_dual_add_nc_u32 v7, v12, v10
	s_wait_dscnt 0x3
	v_dual_add_nc_u32 v8, v15, v17 :: v_dual_add_nc_u32 v9, v14, v16
	s_wait_dscnt 0x1
	v_dual_add_nc_u32 v10, v21, v19 :: v_dual_add_nc_u32 v11, v20, v18
	s_wait_dscnt 0x0
	v_add_nc_u32_e32 v12, v22, v23
	ds_store_2addr_b32 v1, v2, v3 offset1:1
	ds_store_2addr_b32 v1, v5, v4 offset0:2 offset1:3
	ds_store_2addr_b32 v1, v7, v6 offset0:4 offset1:5
	ds_store_2addr_b32 v1, v9, v8 offset0:6 offset1:7
	ds_store_2addr_b32 v1, v11, v10 offset0:8 offset1:9
	ds_store_b32 v1, v12 offset:40
.LBB3_10:
	s_or_b32 exec_lo, exec_lo, s2
	s_delay_alu instid0(SALU_CYCLE_1)
	s_mov_b32 s2, exec_lo
	s_wait_dscnt 0x0
	s_barrier_signal -1
	s_barrier_wait -1
	v_cmpx_gt_u32_e32 8, v0
	s_cbranch_execz .LBB3_12
; %bb.11:
	ds_load_2addr_b32 v[2:3], v1 offset0:88 offset1:89
	ds_load_2addr_b32 v[4:5], v1 offset1:1
	ds_load_2addr_b32 v[6:7], v1 offset0:2 offset1:3
	ds_load_2addr_b32 v[8:9], v1 offset0:90 offset1:91
	ds_load_2addr_b32 v[10:11], v1 offset0:92 offset1:93
	ds_load_2addr_b32 v[12:13], v1 offset0:4 offset1:5
	ds_load_2addr_b32 v[14:15], v1 offset0:6 offset1:7
	ds_load_2addr_b32 v[16:17], v1 offset0:94 offset1:95
	ds_load_2addr_b32 v[18:19], v1 offset0:96 offset1:97
	ds_load_2addr_b32 v[20:21], v1 offset0:8 offset1:9
	ds_load_2addr_b32 v[22:23], v1 offset0:10 offset1:98
	s_wait_dscnt 0x9
	v_dual_add_nc_u32 v3, v5, v3 :: v_dual_add_nc_u32 v2, v4, v2
	s_wait_dscnt 0x7
	v_dual_add_nc_u32 v4, v7, v9 :: v_dual_add_nc_u32 v5, v6, v8
	s_wait_dscnt 0x5
	v_dual_add_nc_u32 v6, v13, v11 :: v_dual_add_nc_u32 v7, v12, v10
	s_wait_dscnt 0x3
	v_dual_add_nc_u32 v8, v15, v17 :: v_dual_add_nc_u32 v9, v14, v16
	s_wait_dscnt 0x1
	v_dual_add_nc_u32 v10, v21, v19 :: v_dual_add_nc_u32 v11, v20, v18
	s_wait_dscnt 0x0
	v_add_nc_u32_e32 v12, v22, v23
	ds_store_2addr_b32 v1, v2, v3 offset1:1
	ds_store_2addr_b32 v1, v5, v4 offset0:2 offset1:3
	ds_store_2addr_b32 v1, v7, v6 offset0:4 offset1:5
	ds_store_2addr_b32 v1, v9, v8 offset0:6 offset1:7
	ds_store_2addr_b32 v1, v11, v10 offset0:8 offset1:9
	ds_store_b32 v1, v12 offset:40
.LBB3_12:
	;; [unrolled: 39-line block ×4, first 2 shown]
	s_or_b32 exec_lo, exec_lo, s2
	s_delay_alu instid0(SALU_CYCLE_1)
	s_mov_b32 s2, exec_lo
	s_wait_dscnt 0x0
	s_barrier_signal -1
	s_barrier_wait -1
	v_cmpx_eq_u32_e32 0, v0
	s_cbranch_execz .LBB3_18
; %bb.17:
	v_mov_b32_e32 v1, 0
	ds_load_2addr_b32 v[14:15], v1 offset0:11 offset1:12
	ds_load_b128 v[2:5], v1
	ds_load_2addr_b32 v[16:17], v1 offset0:13 offset1:14
	ds_load_b128 v[6:9], v1 offset:16
	ds_load_2addr_b32 v[18:19], v1 offset0:15 offset1:16
	ds_load_2addr_b32 v[20:21], v1 offset0:17 offset1:18
	ds_load_b96 v[10:12], v1 offset:32
	ds_load_2addr_b32 v[22:23], v1 offset0:19 offset1:20
	ds_load_b32 v13, v1 offset:84
	s_wait_dscnt 0x7
	v_dual_add_nc_u32 v3, v3, v15 :: v_dual_add_nc_u32 v2, v2, v14
	s_wait_dscnt 0x6
	v_dual_add_nc_u32 v5, v5, v17 :: v_dual_add_nc_u32 v4, v4, v16
	;; [unrolled: 2-line block ×5, first 2 shown]
	s_wait_dscnt 0x0
	v_add_nc_u32_e32 v12, v12, v13
	ds_store_b128 v1, v[2:5]
	ds_store_b128 v1, v[6:9] offset:16
	ds_store_b96 v1, v[10:12] offset:32
.LBB3_18:
	s_or_b32 exec_lo, exec_lo, s2
	s_wait_dscnt 0x0
	s_barrier_signal -1
	s_barrier_wait -1
	s_mov_b32 s2, exec_lo
	v_cmpx_gt_u32_e32 11, v0
	s_cbranch_execz .LBB3_20
; %bb.19:
	v_lshlrev_b32_e32 v1, 2, v0
	ds_load_b32 v1, v1
	s_wait_dscnt 0x0
	global_store_b32 v0, v1, s[0:1] scale_offset
.LBB3_20:
	s_endpgm
	.section	.rodata,"a",@progbits
	.p2align	6, 0x0
	.amdhsa_kernel _ZN9rocsparseL35csrgemm_symbolic_group_reduce_part3ILj256ELj11EiEEvPT1_
		.amdhsa_group_segment_fixed_size 11264
		.amdhsa_private_segment_fixed_size 0
		.amdhsa_kernarg_size 8
		.amdhsa_user_sgpr_count 2
		.amdhsa_user_sgpr_dispatch_ptr 0
		.amdhsa_user_sgpr_queue_ptr 0
		.amdhsa_user_sgpr_kernarg_segment_ptr 1
		.amdhsa_user_sgpr_dispatch_id 0
		.amdhsa_user_sgpr_kernarg_preload_length 0
		.amdhsa_user_sgpr_kernarg_preload_offset 0
		.amdhsa_user_sgpr_private_segment_size 0
		.amdhsa_wavefront_size32 1
		.amdhsa_uses_dynamic_stack 0
		.amdhsa_enable_private_segment 0
		.amdhsa_system_sgpr_workgroup_id_x 1
		.amdhsa_system_sgpr_workgroup_id_y 0
		.amdhsa_system_sgpr_workgroup_id_z 0
		.amdhsa_system_sgpr_workgroup_info 0
		.amdhsa_system_vgpr_workitem_id 0
		.amdhsa_next_free_vgpr 24
		.amdhsa_next_free_sgpr 3
		.amdhsa_named_barrier_count 0
		.amdhsa_reserve_vcc 1
		.amdhsa_float_round_mode_32 0
		.amdhsa_float_round_mode_16_64 0
		.amdhsa_float_denorm_mode_32 3
		.amdhsa_float_denorm_mode_16_64 3
		.amdhsa_fp16_overflow 0
		.amdhsa_memory_ordered 1
		.amdhsa_forward_progress 1
		.amdhsa_inst_pref_size 19
		.amdhsa_round_robin_scheduling 0
		.amdhsa_exception_fp_ieee_invalid_op 0
		.amdhsa_exception_fp_denorm_src 0
		.amdhsa_exception_fp_ieee_div_zero 0
		.amdhsa_exception_fp_ieee_overflow 0
		.amdhsa_exception_fp_ieee_underflow 0
		.amdhsa_exception_fp_ieee_inexact 0
		.amdhsa_exception_int_div_zero 0
	.end_amdhsa_kernel
	.section	.text._ZN9rocsparseL35csrgemm_symbolic_group_reduce_part3ILj256ELj11EiEEvPT1_,"axG",@progbits,_ZN9rocsparseL35csrgemm_symbolic_group_reduce_part3ILj256ELj11EiEEvPT1_,comdat
.Lfunc_end3:
	.size	_ZN9rocsparseL35csrgemm_symbolic_group_reduce_part3ILj256ELj11EiEEvPT1_, .Lfunc_end3-_ZN9rocsparseL35csrgemm_symbolic_group_reduce_part3ILj256ELj11EiEEvPT1_
                                        ; -- End function
	.set _ZN9rocsparseL35csrgemm_symbolic_group_reduce_part3ILj256ELj11EiEEvPT1_.num_vgpr, 24
	.set _ZN9rocsparseL35csrgemm_symbolic_group_reduce_part3ILj256ELj11EiEEvPT1_.num_agpr, 0
	.set _ZN9rocsparseL35csrgemm_symbolic_group_reduce_part3ILj256ELj11EiEEvPT1_.numbered_sgpr, 3
	.set _ZN9rocsparseL35csrgemm_symbolic_group_reduce_part3ILj256ELj11EiEEvPT1_.num_named_barrier, 0
	.set _ZN9rocsparseL35csrgemm_symbolic_group_reduce_part3ILj256ELj11EiEEvPT1_.private_seg_size, 0
	.set _ZN9rocsparseL35csrgemm_symbolic_group_reduce_part3ILj256ELj11EiEEvPT1_.uses_vcc, 1
	.set _ZN9rocsparseL35csrgemm_symbolic_group_reduce_part3ILj256ELj11EiEEvPT1_.uses_flat_scratch, 0
	.set _ZN9rocsparseL35csrgemm_symbolic_group_reduce_part3ILj256ELj11EiEEvPT1_.has_dyn_sized_stack, 0
	.set _ZN9rocsparseL35csrgemm_symbolic_group_reduce_part3ILj256ELj11EiEEvPT1_.has_recursion, 0
	.set _ZN9rocsparseL35csrgemm_symbolic_group_reduce_part3ILj256ELj11EiEEvPT1_.has_indirect_call, 0
	.section	.AMDGPU.csdata,"",@progbits
; Kernel info:
; codeLenInByte = 2412
; TotalNumSgprs: 5
; NumVgprs: 24
; ScratchSize: 0
; MemoryBound: 1
; FloatMode: 240
; IeeeMode: 1
; LDSByteSize: 11264 bytes/workgroup (compile time only)
; SGPRBlocks: 0
; VGPRBlocks: 1
; NumSGPRsForWavesPerEU: 5
; NumVGPRsForWavesPerEU: 24
; NamedBarCnt: 0
; Occupancy: 16
; WaveLimiterHint : 1
; COMPUTE_PGM_RSRC2:SCRATCH_EN: 0
; COMPUTE_PGM_RSRC2:USER_SGPR: 2
; COMPUTE_PGM_RSRC2:TRAP_HANDLER: 0
; COMPUTE_PGM_RSRC2:TGID_X_EN: 1
; COMPUTE_PGM_RSRC2:TGID_Y_EN: 0
; COMPUTE_PGM_RSRC2:TGID_Z_EN: 0
; COMPUTE_PGM_RSRC2:TIDIG_COMP_CNT: 0
	.section	.text._ZN9rocsparseL32csrgemm_symbolic_fill_wf_per_rowILj256ELj8ELj16ELj137EiiEEvT4_S1_PKS1_S3_PKT3_S3_S6_S3_S6_S3_S6_PS1_21rocsparse_index_base_S8_S8_S8_bb,"axG",@progbits,_ZN9rocsparseL32csrgemm_symbolic_fill_wf_per_rowILj256ELj8ELj16ELj137EiiEEvT4_S1_PKS1_S3_PKT3_S3_S6_S3_S6_S3_S6_PS1_21rocsparse_index_base_S8_S8_S8_bb,comdat
	.globl	_ZN9rocsparseL32csrgemm_symbolic_fill_wf_per_rowILj256ELj8ELj16ELj137EiiEEvT4_S1_PKS1_S3_PKT3_S3_S6_S3_S6_S3_S6_PS1_21rocsparse_index_base_S8_S8_S8_bb ; -- Begin function _ZN9rocsparseL32csrgemm_symbolic_fill_wf_per_rowILj256ELj8ELj16ELj137EiiEEvT4_S1_PKS1_S3_PKT3_S3_S6_S3_S6_S3_S6_PS1_21rocsparse_index_base_S8_S8_S8_bb
	.p2align	8
	.type	_ZN9rocsparseL32csrgemm_symbolic_fill_wf_per_rowILj256ELj8ELj16ELj137EiiEEvT4_S1_PKS1_S3_PKT3_S3_S6_S3_S6_S3_S6_PS1_21rocsparse_index_base_S8_S8_S8_bb,@function
_ZN9rocsparseL32csrgemm_symbolic_fill_wf_per_rowILj256ELj8ELj16ELj137EiiEEvT4_S1_PKS1_S3_PKT3_S3_S6_S3_S6_S3_S6_PS1_21rocsparse_index_base_S8_S8_S8_bb: ; @_ZN9rocsparseL32csrgemm_symbolic_fill_wf_per_rowILj256ELj8ELj16ELj137EiiEEvT4_S1_PKS1_S3_PKT3_S3_S6_S3_S6_S3_S6_PS1_21rocsparse_index_base_S8_S8_S8_bb
; %bb.0:
	s_load_b64 s[2:3], s[0:1], 0x0
	s_bfe_u32 s4, ttmp6, 0x4000c
	s_and_b32 s5, ttmp6, 15
	s_add_co_i32 s4, s4, 1
	s_getreg_b32 s6, hwreg(HW_REG_IB_STS2, 6, 4)
	s_mul_i32 s4, ttmp9, s4
	v_dual_lshrrev_b32 v1, 3, v0 :: v_dual_bitop2_b32 v5, 7, v0 bitop3:0x40
	s_add_co_i32 s5, s5, s4
	s_cmp_eq_u32 s6, 0
	s_cselect_b32 s4, ttmp9, s5
	s_delay_alu instid0(VALU_DEP_1) | instskip(SKIP_1) | instid1(SALU_CYCLE_1)
	v_lshlrev_b32_e32 v4, 6, v1
	s_lshl_b32 s4, s4, 5
	v_and_or_b32 v0, 0x1fffffe0, s4, v1
	s_wait_kmcnt 0x0
	v_mov_b32_e32 v2, s3
	v_lshl_or_b32 v1, v5, 2, v4
	s_delay_alu instid0(VALU_DEP_3)
	v_cmp_gt_i32_e32 vcc_lo, s2, v0
	ds_store_2addr_b32 v1, v2, v2 offset1:8
	s_wait_dscnt 0x0
	s_and_saveexec_b32 s2, vcc_lo
	s_cbranch_execz .LBB4_36
; %bb.1:
	s_load_b64 s[4:5], s[0:1], 0x10
	s_wait_kmcnt 0x0
	s_cmp_eq_u64 s[4:5], 0
	s_cbranch_scc1 .LBB4_3
; %bb.2:
	s_load_b64 s[6:7], s[0:1], 0x8
	s_wait_kmcnt 0x0
	s_load_b32 s2, s[6:7], 0x0
	s_wait_kmcnt 0x0
	v_add_nc_u32_e32 v0, s2, v0
	global_load_b32 v0, v0, s[4:5] scale_offset
.LBB4_3:
	s_clause 0x1
	s_load_b32 s2, s[0:1], 0x68
	s_load_b128 s[4:7], s[0:1], 0x58
	s_wait_loadcnt 0x0
	v_ashrrev_i32_e32 v1, 31, v0
	s_wait_kmcnt 0x0
	s_bitcmp0_b32 s2, 0
	s_cbranch_scc1 .LBB4_19
; %bb.4:
	s_load_b64 s[8:9], s[0:1], 0x18
	v_subrev_nc_u32_e32 v7, s4, v5
	s_mov_b32 s14, exec_lo
	s_wait_kmcnt 0x0
	v_lshl_add_u64 v[2:3], v[0:1], 2, s[8:9]
	global_load_b64 v[2:3], v[2:3], off
	s_wait_loadcnt 0x0
	v_subrev_nc_u32_e32 v6, s4, v3
	v_add_nc_u32_e32 v7, v2, v7
	s_delay_alu instid0(VALU_DEP_1)
	v_cmpx_lt_i32_e64 v7, v6
	s_cbranch_execz .LBB4_18
; %bb.5:
	s_clause 0x1
	s_load_b128 s[8:11], s[0:1], 0x20
	s_load_b64 s[12:13], s[0:1], 0x30
	s_mov_b32 s15, 0
	s_branch .LBB4_7
.LBB4_6:                                ;   in Loop: Header=BB4_7 Depth=1
	s_or_b32 exec_lo, exec_lo, s16
	v_add_nc_u32_e32 v7, 8, v7
	s_delay_alu instid0(VALU_DEP_1) | instskip(SKIP_1) | instid1(SALU_CYCLE_1)
	v_cmp_ge_i32_e32 vcc_lo, v7, v6
	s_or_b32 s15, vcc_lo, s15
	s_and_not1_b32 exec_lo, exec_lo, s15
	s_cbranch_execz .LBB4_18
.LBB4_7:                                ; =>This Loop Header: Depth=1
                                        ;     Child Loop BB4_10 Depth 2
                                        ;       Child Loop BB4_13 Depth 3
	s_wait_kmcnt 0x0
	global_load_b32 v2, v7, s[8:9] scale_offset
	s_mov_b32 s16, exec_lo
	s_wait_loadcnt 0x0
	v_subrev_nc_u32_e32 v2, s4, v2
	s_delay_alu instid0(VALU_DEP_1) | instskip(NEXT) | instid1(VALU_DEP_1)
	v_ashrrev_i32_e32 v3, 31, v2
	v_lshl_add_u64 v[2:3], v[2:3], 2, s[10:11]
	global_load_b64 v[2:3], v[2:3], off
	s_wait_loadcnt 0x0
	v_cmpx_lt_i32_e64 v2, v3
	s_cbranch_execz .LBB4_6
; %bb.8:                                ;   in Loop: Header=BB4_7 Depth=1
	v_subrev_nc_u32_e32 v3, s5, v3
	v_subrev_nc_u32_e32 v2, s5, v2
	s_mov_b32 s17, 0
	s_branch .LBB4_10
.LBB4_9:                                ;   in Loop: Header=BB4_10 Depth=2
	s_or_b32 exec_lo, exec_lo, s18
	v_add_nc_u32_e32 v2, 1, v2
	s_delay_alu instid0(VALU_DEP_1) | instskip(SKIP_1) | instid1(SALU_CYCLE_1)
	v_cmp_ge_i32_e32 vcc_lo, v2, v3
	s_or_b32 s17, vcc_lo, s17
	s_and_not1_b32 exec_lo, exec_lo, s17
	s_cbranch_execz .LBB4_6
.LBB4_10:                               ;   Parent Loop BB4_7 Depth=1
                                        ; =>  This Loop Header: Depth=2
                                        ;       Child Loop BB4_13 Depth 3
	global_load_b32 v8, v2, s[12:13] scale_offset
	s_mov_b32 s18, 0
                                        ; implicit-def: $sgpr19
	s_wait_loadcnt 0x0
	v_subrev_nc_u32_e32 v8, s5, v8
	s_delay_alu instid0(VALU_DEP_1) | instskip(NEXT) | instid1(VALU_DEP_1)
	v_lshl_add_u32 v9, v8, 3, v8
	v_and_b32_e32 v9, 15, v9
	s_branch .LBB4_13
.LBB4_11:                               ;   in Loop: Header=BB4_13 Depth=3
	s_or_b32 exec_lo, exec_lo, s21
	s_delay_alu instid0(SALU_CYCLE_1) | instskip(SKIP_1) | instid1(SALU_CYCLE_1)
	s_and_not1_b32 s19, s19, exec_lo
	s_and_b32 s21, s22, exec_lo
	s_or_b32 s19, s19, s21
.LBB4_12:                               ;   in Loop: Header=BB4_13 Depth=3
	s_or_b32 exec_lo, exec_lo, s20
	s_xor_b32 s20, s19, -1
	s_delay_alu instid0(SALU_CYCLE_1) | instskip(NEXT) | instid1(SALU_CYCLE_1)
	s_and_b32 s20, exec_lo, s20
	s_or_b32 s18, s20, s18
	s_delay_alu instid0(SALU_CYCLE_1)
	s_and_not1_b32 exec_lo, exec_lo, s18
	s_cbranch_execz .LBB4_9
.LBB4_13:                               ;   Parent Loop BB4_7 Depth=1
                                        ;     Parent Loop BB4_10 Depth=2
                                        ; =>    This Inner Loop Header: Depth=3
	s_delay_alu instid0(VALU_DEP_1)
	v_lshl_add_u32 v10, v9, 2, v4
	s_and_not1_b32 s19, s19, exec_lo
	s_mov_b32 s20, exec_lo
	ds_load_b32 v11, v10
	s_wait_dscnt 0x0
	v_cmpx_ne_u32_e64 v11, v8
	s_cbranch_execz .LBB4_12
; %bb.14:                               ;   in Loop: Header=BB4_13 Depth=3
	s_mov_b32 s21, exec_lo
	v_cmpx_ne_u32_e64 s3, v11
	s_xor_b32 s21, exec_lo, s21
; %bb.15:                               ;   in Loop: Header=BB4_13 Depth=3
	v_add_nc_u32_e32 v9, 1, v9
                                        ; implicit-def: $vgpr10
	s_delay_alu instid0(VALU_DEP_1)
	v_and_b32_e32 v9, 15, v9
; %bb.16:                               ;   in Loop: Header=BB4_13 Depth=3
	s_or_saveexec_b32 s21, s21
	s_mov_b32 s22, -1
	s_xor_b32 exec_lo, exec_lo, s21
	s_cbranch_execz .LBB4_11
; %bb.17:                               ;   in Loop: Header=BB4_13 Depth=3
	v_mov_b32_e32 v11, s3
	ds_cmpstore_rtn_b32 v10, v10, v8, v11
	s_wait_dscnt 0x0
	v_cmp_ne_u32_e32 vcc_lo, s3, v10
	s_or_not1_b32 s22, vcc_lo, exec_lo
	s_branch .LBB4_11
.LBB4_18:
	s_or_b32 exec_lo, exec_lo, s14
.LBB4_19:
	s_load_b128 s[8:11], s[0:1], 0x48
	s_bfe_u32 s2, s2, 0x10008
	s_delay_alu instid0(SALU_CYCLE_1)
	s_cmp_eq_u32 s2, 0
	s_cbranch_scc1 .LBB4_32
; %bb.20:
	s_load_b64 s[4:5], s[0:1], 0x38
	s_mov_b32 s2, exec_lo
	s_wait_kmcnt 0x0
	v_lshl_add_u64 v[2:3], v[0:1], 2, s[4:5]
	global_load_b64 v[6:7], v[2:3], off
	s_wait_xcnt 0x0
	v_subrev_nc_u32_e32 v3, s7, v5
	s_wait_loadcnt 0x0
	v_subrev_nc_u32_e32 v2, s7, v7
	s_delay_alu instid0(VALU_DEP_2) | instskip(NEXT) | instid1(VALU_DEP_1)
	v_add_nc_u32_e32 v3, v6, v3
	v_cmpx_lt_i32_e64 v3, v2
	s_cbranch_execz .LBB4_31
; %bb.21:
	s_load_b64 s[0:1], s[0:1], 0x40
	s_mov_b32 s4, 0
	s_branch .LBB4_23
.LBB4_22:                               ;   in Loop: Header=BB4_23 Depth=1
	s_or_b32 exec_lo, exec_lo, s5
	v_add_nc_u32_e32 v3, 8, v3
	s_delay_alu instid0(VALU_DEP_1) | instskip(SKIP_1) | instid1(SALU_CYCLE_1)
	v_cmp_ge_i32_e32 vcc_lo, v3, v2
	s_or_b32 s4, vcc_lo, s4
	s_and_not1_b32 exec_lo, exec_lo, s4
	s_cbranch_execz .LBB4_31
.LBB4_23:                               ; =>This Loop Header: Depth=1
                                        ;     Child Loop BB4_26 Depth 2
	s_wait_kmcnt 0x0
	global_load_b32 v6, v3, s[0:1] scale_offset
	s_mov_b32 s5, 0
                                        ; implicit-def: $sgpr12
	s_wait_loadcnt 0x0
	v_subrev_nc_u32_e32 v6, s7, v6
	s_delay_alu instid0(VALU_DEP_1) | instskip(NEXT) | instid1(VALU_DEP_1)
	v_lshl_add_u32 v7, v6, 3, v6
	v_and_b32_e32 v7, 15, v7
	s_branch .LBB4_26
.LBB4_24:                               ;   in Loop: Header=BB4_26 Depth=2
	s_or_b32 exec_lo, exec_lo, s14
	s_delay_alu instid0(SALU_CYCLE_1) | instskip(SKIP_1) | instid1(SALU_CYCLE_1)
	s_and_not1_b32 s12, s12, exec_lo
	s_and_b32 s14, s15, exec_lo
	s_or_b32 s12, s12, s14
.LBB4_25:                               ;   in Loop: Header=BB4_26 Depth=2
	s_or_b32 exec_lo, exec_lo, s13
	s_xor_b32 s13, s12, -1
	s_delay_alu instid0(SALU_CYCLE_1) | instskip(NEXT) | instid1(SALU_CYCLE_1)
	s_and_b32 s13, exec_lo, s13
	s_or_b32 s5, s13, s5
	s_delay_alu instid0(SALU_CYCLE_1)
	s_and_not1_b32 exec_lo, exec_lo, s5
	s_cbranch_execz .LBB4_22
.LBB4_26:                               ;   Parent Loop BB4_23 Depth=1
                                        ; =>  This Inner Loop Header: Depth=2
	s_delay_alu instid0(VALU_DEP_1)
	v_lshl_add_u32 v8, v7, 2, v4
	s_and_not1_b32 s12, s12, exec_lo
	s_mov_b32 s13, exec_lo
	ds_load_b32 v9, v8
	s_wait_dscnt 0x0
	v_cmpx_ne_u32_e64 v9, v6
	s_cbranch_execz .LBB4_25
; %bb.27:                               ;   in Loop: Header=BB4_26 Depth=2
	s_mov_b32 s14, exec_lo
	v_cmpx_ne_u32_e64 s3, v9
	s_xor_b32 s14, exec_lo, s14
; %bb.28:                               ;   in Loop: Header=BB4_26 Depth=2
	v_add_nc_u32_e32 v7, 1, v7
                                        ; implicit-def: $vgpr8
	s_delay_alu instid0(VALU_DEP_1)
	v_and_b32_e32 v7, 15, v7
; %bb.29:                               ;   in Loop: Header=BB4_26 Depth=2
	s_or_saveexec_b32 s14, s14
	s_mov_b32 s15, -1
	s_xor_b32 exec_lo, exec_lo, s14
	s_cbranch_execz .LBB4_24
; %bb.30:                               ;   in Loop: Header=BB4_26 Depth=2
	v_mov_b32_e32 v9, s3
	ds_cmpstore_rtn_b32 v8, v8, v6, v9
	s_wait_dscnt 0x0
	v_cmp_ne_u32_e32 vcc_lo, s3, v8
	s_or_not1_b32 s15, vcc_lo, exec_lo
	s_branch .LBB4_24
.LBB4_31:
	s_or_b32 exec_lo, exec_lo, s2
.LBB4_32:
	s_wait_kmcnt 0x0
	v_lshl_add_u64 v[0:1], v[0:1], 2, s[8:9]
	v_lshl_add_u32 v2, v5, 2, v4
	s_mov_b32 s0, 0
	global_load_b32 v1, v[0:1], off
	s_wait_xcnt 0x0
	v_or_b32_e32 v0, -8, v5
	s_wait_loadcnt 0x0
	v_subrev_nc_u32_e32 v1, s6, v1
	s_branch .LBB4_34
.LBB4_33:                               ;   in Loop: Header=BB4_34 Depth=1
	s_wait_xcnt 0x0
	s_or_b32 exec_lo, exec_lo, s1
	v_add_co_u32 v0, s1, v0, 8
	s_xor_b32 s1, s1, -1
	v_add_nc_u32_e32 v2, 32, v2
	s_and_b32 s1, exec_lo, s1
	s_delay_alu instid0(SALU_CYCLE_1) | instskip(NEXT) | instid1(SALU_CYCLE_1)
	s_or_b32 s0, s1, s0
	s_and_not1_b32 exec_lo, exec_lo, s0
	s_cbranch_execz .LBB4_36
.LBB4_34:                               ; =>This Inner Loop Header: Depth=1
	ds_load_b32 v3, v2
	s_mov_b32 s1, exec_lo
	s_wait_dscnt 0x0
	v_cmpx_gt_i32_e64 s3, v3
	s_cbranch_execz .LBB4_33
; %bb.35:                               ;   in Loop: Header=BB4_34 Depth=1
	ds_load_b128 v[6:9], v4
	ds_load_b128 v[10:13], v4 offset:16
	ds_load_b128 v[14:17], v4 offset:32
	;; [unrolled: 1-line block ×3, first 2 shown]
	s_wait_dscnt 0x3
	v_cmp_gt_i32_e32 vcc_lo, v3, v6
	v_cndmask_b32_e64 v5, 0, 1, vcc_lo
	v_cmp_gt_i32_e32 vcc_lo, v3, v8
	v_cndmask_b32_e64 v6, 0, 1, vcc_lo
	v_cmp_gt_i32_e32 vcc_lo, v3, v7
	s_delay_alu instid0(VALU_DEP_4)
	v_add_co_ci_u32_e64 v5, null, v1, v5, vcc_lo
	s_wait_dscnt 0x2
	v_cmp_gt_i32_e32 vcc_lo, v3, v10
	v_cndmask_b32_e64 v7, 0, 1, vcc_lo
	v_cmp_gt_i32_e32 vcc_lo, v3, v9
	v_add_co_ci_u32_e64 v5, null, v5, v6, vcc_lo
	v_cmp_gt_i32_e32 vcc_lo, v3, v12
	v_cndmask_b32_e64 v6, 0, 1, vcc_lo
	v_cmp_gt_i32_e32 vcc_lo, v3, v11
	s_delay_alu instid0(VALU_DEP_4)
	v_add_co_ci_u32_e64 v5, null, v5, v7, vcc_lo
	s_wait_dscnt 0x1
	v_cmp_gt_i32_e32 vcc_lo, v3, v14
	v_cndmask_b32_e64 v7, 0, 1, vcc_lo
	v_cmp_gt_i32_e32 vcc_lo, v3, v13
	v_add_co_ci_u32_e64 v5, null, v5, v6, vcc_lo
	;; [unrolled: 10-line block ×3, first 2 shown]
	v_cmp_gt_i32_e32 vcc_lo, v3, v20
	v_cndmask_b32_e64 v6, 0, 1, vcc_lo
	v_cmp_gt_i32_e32 vcc_lo, v3, v19
	s_delay_alu instid0(VALU_DEP_4) | instskip(SKIP_2) | instid1(VALU_DEP_3)
	v_add_co_ci_u32_e64 v5, null, v5, v7, vcc_lo
	v_cmp_gt_i32_e32 vcc_lo, v3, v21
	v_add_nc_u32_e32 v3, s6, v3
	v_add_co_ci_u32_e64 v5, null, v5, v6, vcc_lo
	global_store_b32 v5, v3, s[10:11] scale_offset
	s_branch .LBB4_33
.LBB4_36:
	s_endpgm
	.section	.rodata,"a",@progbits
	.p2align	6, 0x0
	.amdhsa_kernel _ZN9rocsparseL32csrgemm_symbolic_fill_wf_per_rowILj256ELj8ELj16ELj137EiiEEvT4_S1_PKS1_S3_PKT3_S3_S6_S3_S6_S3_S6_PS1_21rocsparse_index_base_S8_S8_S8_bb
		.amdhsa_group_segment_fixed_size 2048
		.amdhsa_private_segment_fixed_size 0
		.amdhsa_kernarg_size 108
		.amdhsa_user_sgpr_count 2
		.amdhsa_user_sgpr_dispatch_ptr 0
		.amdhsa_user_sgpr_queue_ptr 0
		.amdhsa_user_sgpr_kernarg_segment_ptr 1
		.amdhsa_user_sgpr_dispatch_id 0
		.amdhsa_user_sgpr_kernarg_preload_length 0
		.amdhsa_user_sgpr_kernarg_preload_offset 0
		.amdhsa_user_sgpr_private_segment_size 0
		.amdhsa_wavefront_size32 1
		.amdhsa_uses_dynamic_stack 0
		.amdhsa_enable_private_segment 0
		.amdhsa_system_sgpr_workgroup_id_x 1
		.amdhsa_system_sgpr_workgroup_id_y 0
		.amdhsa_system_sgpr_workgroup_id_z 0
		.amdhsa_system_sgpr_workgroup_info 0
		.amdhsa_system_vgpr_workitem_id 0
		.amdhsa_next_free_vgpr 22
		.amdhsa_next_free_sgpr 23
		.amdhsa_named_barrier_count 0
		.amdhsa_reserve_vcc 1
		.amdhsa_float_round_mode_32 0
		.amdhsa_float_round_mode_16_64 0
		.amdhsa_float_denorm_mode_32 3
		.amdhsa_float_denorm_mode_16_64 3
		.amdhsa_fp16_overflow 0
		.amdhsa_memory_ordered 1
		.amdhsa_forward_progress 1
		.amdhsa_inst_pref_size 12
		.amdhsa_round_robin_scheduling 0
		.amdhsa_exception_fp_ieee_invalid_op 0
		.amdhsa_exception_fp_denorm_src 0
		.amdhsa_exception_fp_ieee_div_zero 0
		.amdhsa_exception_fp_ieee_overflow 0
		.amdhsa_exception_fp_ieee_underflow 0
		.amdhsa_exception_fp_ieee_inexact 0
		.amdhsa_exception_int_div_zero 0
	.end_amdhsa_kernel
	.section	.text._ZN9rocsparseL32csrgemm_symbolic_fill_wf_per_rowILj256ELj8ELj16ELj137EiiEEvT4_S1_PKS1_S3_PKT3_S3_S6_S3_S6_S3_S6_PS1_21rocsparse_index_base_S8_S8_S8_bb,"axG",@progbits,_ZN9rocsparseL32csrgemm_symbolic_fill_wf_per_rowILj256ELj8ELj16ELj137EiiEEvT4_S1_PKS1_S3_PKT3_S3_S6_S3_S6_S3_S6_PS1_21rocsparse_index_base_S8_S8_S8_bb,comdat
.Lfunc_end4:
	.size	_ZN9rocsparseL32csrgemm_symbolic_fill_wf_per_rowILj256ELj8ELj16ELj137EiiEEvT4_S1_PKS1_S3_PKT3_S3_S6_S3_S6_S3_S6_PS1_21rocsparse_index_base_S8_S8_S8_bb, .Lfunc_end4-_ZN9rocsparseL32csrgemm_symbolic_fill_wf_per_rowILj256ELj8ELj16ELj137EiiEEvT4_S1_PKS1_S3_PKT3_S3_S6_S3_S6_S3_S6_PS1_21rocsparse_index_base_S8_S8_S8_bb
                                        ; -- End function
	.set _ZN9rocsparseL32csrgemm_symbolic_fill_wf_per_rowILj256ELj8ELj16ELj137EiiEEvT4_S1_PKS1_S3_PKT3_S3_S6_S3_S6_S3_S6_PS1_21rocsparse_index_base_S8_S8_S8_bb.num_vgpr, 22
	.set _ZN9rocsparseL32csrgemm_symbolic_fill_wf_per_rowILj256ELj8ELj16ELj137EiiEEvT4_S1_PKS1_S3_PKT3_S3_S6_S3_S6_S3_S6_PS1_21rocsparse_index_base_S8_S8_S8_bb.num_agpr, 0
	.set _ZN9rocsparseL32csrgemm_symbolic_fill_wf_per_rowILj256ELj8ELj16ELj137EiiEEvT4_S1_PKS1_S3_PKT3_S3_S6_S3_S6_S3_S6_PS1_21rocsparse_index_base_S8_S8_S8_bb.numbered_sgpr, 23
	.set _ZN9rocsparseL32csrgemm_symbolic_fill_wf_per_rowILj256ELj8ELj16ELj137EiiEEvT4_S1_PKS1_S3_PKT3_S3_S6_S3_S6_S3_S6_PS1_21rocsparse_index_base_S8_S8_S8_bb.num_named_barrier, 0
	.set _ZN9rocsparseL32csrgemm_symbolic_fill_wf_per_rowILj256ELj8ELj16ELj137EiiEEvT4_S1_PKS1_S3_PKT3_S3_S6_S3_S6_S3_S6_PS1_21rocsparse_index_base_S8_S8_S8_bb.private_seg_size, 0
	.set _ZN9rocsparseL32csrgemm_symbolic_fill_wf_per_rowILj256ELj8ELj16ELj137EiiEEvT4_S1_PKS1_S3_PKT3_S3_S6_S3_S6_S3_S6_PS1_21rocsparse_index_base_S8_S8_S8_bb.uses_vcc, 1
	.set _ZN9rocsparseL32csrgemm_symbolic_fill_wf_per_rowILj256ELj8ELj16ELj137EiiEEvT4_S1_PKS1_S3_PKT3_S3_S6_S3_S6_S3_S6_PS1_21rocsparse_index_base_S8_S8_S8_bb.uses_flat_scratch, 0
	.set _ZN9rocsparseL32csrgemm_symbolic_fill_wf_per_rowILj256ELj8ELj16ELj137EiiEEvT4_S1_PKS1_S3_PKT3_S3_S6_S3_S6_S3_S6_PS1_21rocsparse_index_base_S8_S8_S8_bb.has_dyn_sized_stack, 0
	.set _ZN9rocsparseL32csrgemm_symbolic_fill_wf_per_rowILj256ELj8ELj16ELj137EiiEEvT4_S1_PKS1_S3_PKT3_S3_S6_S3_S6_S3_S6_PS1_21rocsparse_index_base_S8_S8_S8_bb.has_recursion, 0
	.set _ZN9rocsparseL32csrgemm_symbolic_fill_wf_per_rowILj256ELj8ELj16ELj137EiiEEvT4_S1_PKS1_S3_PKT3_S3_S6_S3_S6_S3_S6_PS1_21rocsparse_index_base_S8_S8_S8_bb.has_indirect_call, 0
	.section	.AMDGPU.csdata,"",@progbits
; Kernel info:
; codeLenInByte = 1452
; TotalNumSgprs: 25
; NumVgprs: 22
; ScratchSize: 0
; MemoryBound: 0
; FloatMode: 240
; IeeeMode: 1
; LDSByteSize: 2048 bytes/workgroup (compile time only)
; SGPRBlocks: 0
; VGPRBlocks: 1
; NumSGPRsForWavesPerEU: 25
; NumVGPRsForWavesPerEU: 22
; NamedBarCnt: 0
; Occupancy: 16
; WaveLimiterHint : 1
; COMPUTE_PGM_RSRC2:SCRATCH_EN: 0
; COMPUTE_PGM_RSRC2:USER_SGPR: 2
; COMPUTE_PGM_RSRC2:TRAP_HANDLER: 0
; COMPUTE_PGM_RSRC2:TGID_X_EN: 1
; COMPUTE_PGM_RSRC2:TGID_Y_EN: 0
; COMPUTE_PGM_RSRC2:TGID_Z_EN: 0
; COMPUTE_PGM_RSRC2:TIDIG_COMP_CNT: 0
	.section	.text._ZN9rocsparseL32csrgemm_symbolic_fill_wf_per_rowILj256ELj16ELj32ELj137EiiEEvT4_S1_PKS1_S3_PKT3_S3_S6_S3_S6_S3_S6_PS1_21rocsparse_index_base_S8_S8_S8_bb,"axG",@progbits,_ZN9rocsparseL32csrgemm_symbolic_fill_wf_per_rowILj256ELj16ELj32ELj137EiiEEvT4_S1_PKS1_S3_PKT3_S3_S6_S3_S6_S3_S6_PS1_21rocsparse_index_base_S8_S8_S8_bb,comdat
	.globl	_ZN9rocsparseL32csrgemm_symbolic_fill_wf_per_rowILj256ELj16ELj32ELj137EiiEEvT4_S1_PKS1_S3_PKT3_S3_S6_S3_S6_S3_S6_PS1_21rocsparse_index_base_S8_S8_S8_bb ; -- Begin function _ZN9rocsparseL32csrgemm_symbolic_fill_wf_per_rowILj256ELj16ELj32ELj137EiiEEvT4_S1_PKS1_S3_PKT3_S3_S6_S3_S6_S3_S6_PS1_21rocsparse_index_base_S8_S8_S8_bb
	.p2align	8
	.type	_ZN9rocsparseL32csrgemm_symbolic_fill_wf_per_rowILj256ELj16ELj32ELj137EiiEEvT4_S1_PKS1_S3_PKT3_S3_S6_S3_S6_S3_S6_PS1_21rocsparse_index_base_S8_S8_S8_bb,@function
_ZN9rocsparseL32csrgemm_symbolic_fill_wf_per_rowILj256ELj16ELj32ELj137EiiEEvT4_S1_PKS1_S3_PKT3_S3_S6_S3_S6_S3_S6_PS1_21rocsparse_index_base_S8_S8_S8_bb: ; @_ZN9rocsparseL32csrgemm_symbolic_fill_wf_per_rowILj256ELj16ELj32ELj137EiiEEvT4_S1_PKS1_S3_PKT3_S3_S6_S3_S6_S3_S6_PS1_21rocsparse_index_base_S8_S8_S8_bb
; %bb.0:
	s_load_b64 s[2:3], s[0:1], 0x0
	s_bfe_u32 s4, ttmp6, 0x4000c
	s_and_b32 s5, ttmp6, 15
	s_add_co_i32 s4, s4, 1
	s_getreg_b32 s6, hwreg(HW_REG_IB_STS2, 6, 4)
	s_mul_i32 s4, ttmp9, s4
	v_dual_lshrrev_b32 v1, 4, v0 :: v_dual_bitop2_b32 v5, 15, v0 bitop3:0x40
	s_add_co_i32 s5, s5, s4
	s_cmp_eq_u32 s6, 0
	s_cselect_b32 s4, ttmp9, s5
	s_delay_alu instid0(VALU_DEP_1) | instskip(SKIP_1) | instid1(SALU_CYCLE_1)
	v_lshlrev_b32_e32 v4, 7, v1
	s_lshl_b32 s4, s4, 4
	v_and_or_b32 v0, 0xffffff0, s4, v1
	s_wait_kmcnt 0x0
	v_mov_b32_e32 v2, s3
	v_lshl_or_b32 v1, v5, 2, v4
	s_delay_alu instid0(VALU_DEP_3)
	v_cmp_gt_i32_e32 vcc_lo, s2, v0
	ds_store_2addr_b32 v1, v2, v2 offset1:16
	s_wait_dscnt 0x0
	s_and_saveexec_b32 s2, vcc_lo
	s_cbranch_execz .LBB5_36
; %bb.1:
	s_load_b64 s[4:5], s[0:1], 0x10
	s_wait_kmcnt 0x0
	s_cmp_eq_u64 s[4:5], 0
	s_cbranch_scc1 .LBB5_3
; %bb.2:
	s_load_b64 s[6:7], s[0:1], 0x8
	s_wait_kmcnt 0x0
	s_load_b32 s2, s[6:7], 0x0
	s_wait_kmcnt 0x0
	v_add_nc_u32_e32 v0, s2, v0
	global_load_b32 v0, v0, s[4:5] scale_offset
.LBB5_3:
	s_clause 0x1
	s_load_b32 s2, s[0:1], 0x68
	s_load_b128 s[4:7], s[0:1], 0x58
	s_wait_loadcnt 0x0
	v_ashrrev_i32_e32 v1, 31, v0
	s_wait_kmcnt 0x0
	s_bitcmp0_b32 s2, 0
	s_cbranch_scc1 .LBB5_19
; %bb.4:
	s_load_b64 s[8:9], s[0:1], 0x18
	v_subrev_nc_u32_e32 v7, s4, v5
	s_mov_b32 s14, exec_lo
	s_wait_kmcnt 0x0
	v_lshl_add_u64 v[2:3], v[0:1], 2, s[8:9]
	global_load_b64 v[2:3], v[2:3], off
	s_wait_loadcnt 0x0
	v_subrev_nc_u32_e32 v6, s4, v3
	v_add_nc_u32_e32 v7, v2, v7
	s_delay_alu instid0(VALU_DEP_1)
	v_cmpx_lt_i32_e64 v7, v6
	s_cbranch_execz .LBB5_18
; %bb.5:
	s_clause 0x1
	s_load_b128 s[8:11], s[0:1], 0x20
	s_load_b64 s[12:13], s[0:1], 0x30
	s_mov_b32 s15, 0
	s_branch .LBB5_7
.LBB5_6:                                ;   in Loop: Header=BB5_7 Depth=1
	s_or_b32 exec_lo, exec_lo, s16
	v_add_nc_u32_e32 v7, 16, v7
	s_delay_alu instid0(VALU_DEP_1) | instskip(SKIP_1) | instid1(SALU_CYCLE_1)
	v_cmp_ge_i32_e32 vcc_lo, v7, v6
	s_or_b32 s15, vcc_lo, s15
	s_and_not1_b32 exec_lo, exec_lo, s15
	s_cbranch_execz .LBB5_18
.LBB5_7:                                ; =>This Loop Header: Depth=1
                                        ;     Child Loop BB5_10 Depth 2
                                        ;       Child Loop BB5_13 Depth 3
	s_wait_kmcnt 0x0
	global_load_b32 v2, v7, s[8:9] scale_offset
	s_mov_b32 s16, exec_lo
	s_wait_loadcnt 0x0
	v_subrev_nc_u32_e32 v2, s4, v2
	s_delay_alu instid0(VALU_DEP_1) | instskip(NEXT) | instid1(VALU_DEP_1)
	v_ashrrev_i32_e32 v3, 31, v2
	v_lshl_add_u64 v[2:3], v[2:3], 2, s[10:11]
	global_load_b64 v[2:3], v[2:3], off
	s_wait_loadcnt 0x0
	v_cmpx_lt_i32_e64 v2, v3
	s_cbranch_execz .LBB5_6
; %bb.8:                                ;   in Loop: Header=BB5_7 Depth=1
	v_subrev_nc_u32_e32 v3, s5, v3
	v_subrev_nc_u32_e32 v2, s5, v2
	s_mov_b32 s17, 0
	s_branch .LBB5_10
.LBB5_9:                                ;   in Loop: Header=BB5_10 Depth=2
	s_or_b32 exec_lo, exec_lo, s18
	v_add_nc_u32_e32 v2, 1, v2
	s_delay_alu instid0(VALU_DEP_1) | instskip(SKIP_1) | instid1(SALU_CYCLE_1)
	v_cmp_ge_i32_e32 vcc_lo, v2, v3
	s_or_b32 s17, vcc_lo, s17
	s_and_not1_b32 exec_lo, exec_lo, s17
	s_cbranch_execz .LBB5_6
.LBB5_10:                               ;   Parent Loop BB5_7 Depth=1
                                        ; =>  This Loop Header: Depth=2
                                        ;       Child Loop BB5_13 Depth 3
	global_load_b32 v8, v2, s[12:13] scale_offset
	s_mov_b32 s18, 0
                                        ; implicit-def: $sgpr19
	s_wait_loadcnt 0x0
	v_subrev_nc_u32_e32 v8, s5, v8
	s_delay_alu instid0(VALU_DEP_1) | instskip(NEXT) | instid1(VALU_DEP_1)
	v_lshl_add_u32 v9, v8, 3, v8
	v_and_b32_e32 v9, 31, v9
	s_branch .LBB5_13
.LBB5_11:                               ;   in Loop: Header=BB5_13 Depth=3
	s_or_b32 exec_lo, exec_lo, s21
	s_delay_alu instid0(SALU_CYCLE_1) | instskip(SKIP_1) | instid1(SALU_CYCLE_1)
	s_and_not1_b32 s19, s19, exec_lo
	s_and_b32 s21, s22, exec_lo
	s_or_b32 s19, s19, s21
.LBB5_12:                               ;   in Loop: Header=BB5_13 Depth=3
	s_or_b32 exec_lo, exec_lo, s20
	s_xor_b32 s20, s19, -1
	s_delay_alu instid0(SALU_CYCLE_1) | instskip(NEXT) | instid1(SALU_CYCLE_1)
	s_and_b32 s20, exec_lo, s20
	s_or_b32 s18, s20, s18
	s_delay_alu instid0(SALU_CYCLE_1)
	s_and_not1_b32 exec_lo, exec_lo, s18
	s_cbranch_execz .LBB5_9
.LBB5_13:                               ;   Parent Loop BB5_7 Depth=1
                                        ;     Parent Loop BB5_10 Depth=2
                                        ; =>    This Inner Loop Header: Depth=3
	s_delay_alu instid0(VALU_DEP_1)
	v_lshl_add_u32 v10, v9, 2, v4
	s_and_not1_b32 s19, s19, exec_lo
	s_mov_b32 s20, exec_lo
	ds_load_b32 v11, v10
	s_wait_dscnt 0x0
	v_cmpx_ne_u32_e64 v11, v8
	s_cbranch_execz .LBB5_12
; %bb.14:                               ;   in Loop: Header=BB5_13 Depth=3
	s_mov_b32 s21, exec_lo
	v_cmpx_ne_u32_e64 s3, v11
	s_xor_b32 s21, exec_lo, s21
; %bb.15:                               ;   in Loop: Header=BB5_13 Depth=3
	v_add_nc_u32_e32 v9, 1, v9
                                        ; implicit-def: $vgpr10
	s_delay_alu instid0(VALU_DEP_1)
	v_and_b32_e32 v9, 31, v9
; %bb.16:                               ;   in Loop: Header=BB5_13 Depth=3
	s_or_saveexec_b32 s21, s21
	s_mov_b32 s22, -1
	s_xor_b32 exec_lo, exec_lo, s21
	s_cbranch_execz .LBB5_11
; %bb.17:                               ;   in Loop: Header=BB5_13 Depth=3
	v_mov_b32_e32 v11, s3
	ds_cmpstore_rtn_b32 v10, v10, v8, v11
	s_wait_dscnt 0x0
	v_cmp_ne_u32_e32 vcc_lo, s3, v10
	s_or_not1_b32 s22, vcc_lo, exec_lo
	s_branch .LBB5_11
.LBB5_18:
	s_or_b32 exec_lo, exec_lo, s14
.LBB5_19:
	s_load_b128 s[8:11], s[0:1], 0x48
	s_bfe_u32 s2, s2, 0x10008
	s_delay_alu instid0(SALU_CYCLE_1)
	s_cmp_eq_u32 s2, 0
	s_cbranch_scc1 .LBB5_32
; %bb.20:
	s_load_b64 s[4:5], s[0:1], 0x38
	s_mov_b32 s2, exec_lo
	s_wait_kmcnt 0x0
	v_lshl_add_u64 v[2:3], v[0:1], 2, s[4:5]
	global_load_b64 v[6:7], v[2:3], off
	s_wait_xcnt 0x0
	v_subrev_nc_u32_e32 v3, s7, v5
	s_wait_loadcnt 0x0
	v_subrev_nc_u32_e32 v2, s7, v7
	s_delay_alu instid0(VALU_DEP_2) | instskip(NEXT) | instid1(VALU_DEP_1)
	v_add_nc_u32_e32 v3, v6, v3
	v_cmpx_lt_i32_e64 v3, v2
	s_cbranch_execz .LBB5_31
; %bb.21:
	s_load_b64 s[0:1], s[0:1], 0x40
	s_mov_b32 s4, 0
	s_branch .LBB5_23
.LBB5_22:                               ;   in Loop: Header=BB5_23 Depth=1
	s_or_b32 exec_lo, exec_lo, s5
	v_add_nc_u32_e32 v3, 16, v3
	s_delay_alu instid0(VALU_DEP_1) | instskip(SKIP_1) | instid1(SALU_CYCLE_1)
	v_cmp_ge_i32_e32 vcc_lo, v3, v2
	s_or_b32 s4, vcc_lo, s4
	s_and_not1_b32 exec_lo, exec_lo, s4
	s_cbranch_execz .LBB5_31
.LBB5_23:                               ; =>This Loop Header: Depth=1
                                        ;     Child Loop BB5_26 Depth 2
	s_wait_kmcnt 0x0
	global_load_b32 v6, v3, s[0:1] scale_offset
	s_mov_b32 s5, 0
                                        ; implicit-def: $sgpr12
	s_wait_loadcnt 0x0
	v_subrev_nc_u32_e32 v6, s7, v6
	s_delay_alu instid0(VALU_DEP_1) | instskip(NEXT) | instid1(VALU_DEP_1)
	v_lshl_add_u32 v7, v6, 3, v6
	v_and_b32_e32 v7, 31, v7
	s_branch .LBB5_26
.LBB5_24:                               ;   in Loop: Header=BB5_26 Depth=2
	s_or_b32 exec_lo, exec_lo, s14
	s_delay_alu instid0(SALU_CYCLE_1) | instskip(SKIP_1) | instid1(SALU_CYCLE_1)
	s_and_not1_b32 s12, s12, exec_lo
	s_and_b32 s14, s15, exec_lo
	s_or_b32 s12, s12, s14
.LBB5_25:                               ;   in Loop: Header=BB5_26 Depth=2
	s_or_b32 exec_lo, exec_lo, s13
	s_xor_b32 s13, s12, -1
	s_delay_alu instid0(SALU_CYCLE_1) | instskip(NEXT) | instid1(SALU_CYCLE_1)
	s_and_b32 s13, exec_lo, s13
	s_or_b32 s5, s13, s5
	s_delay_alu instid0(SALU_CYCLE_1)
	s_and_not1_b32 exec_lo, exec_lo, s5
	s_cbranch_execz .LBB5_22
.LBB5_26:                               ;   Parent Loop BB5_23 Depth=1
                                        ; =>  This Inner Loop Header: Depth=2
	s_delay_alu instid0(VALU_DEP_1)
	v_lshl_add_u32 v8, v7, 2, v4
	s_and_not1_b32 s12, s12, exec_lo
	s_mov_b32 s13, exec_lo
	ds_load_b32 v9, v8
	s_wait_dscnt 0x0
	v_cmpx_ne_u32_e64 v9, v6
	s_cbranch_execz .LBB5_25
; %bb.27:                               ;   in Loop: Header=BB5_26 Depth=2
	s_mov_b32 s14, exec_lo
	v_cmpx_ne_u32_e64 s3, v9
	s_xor_b32 s14, exec_lo, s14
; %bb.28:                               ;   in Loop: Header=BB5_26 Depth=2
	v_add_nc_u32_e32 v7, 1, v7
                                        ; implicit-def: $vgpr8
	s_delay_alu instid0(VALU_DEP_1)
	v_and_b32_e32 v7, 31, v7
; %bb.29:                               ;   in Loop: Header=BB5_26 Depth=2
	s_or_saveexec_b32 s14, s14
	s_mov_b32 s15, -1
	s_xor_b32 exec_lo, exec_lo, s14
	s_cbranch_execz .LBB5_24
; %bb.30:                               ;   in Loop: Header=BB5_26 Depth=2
	v_mov_b32_e32 v9, s3
	ds_cmpstore_rtn_b32 v8, v8, v6, v9
	s_wait_dscnt 0x0
	v_cmp_ne_u32_e32 vcc_lo, s3, v8
	s_or_not1_b32 s15, vcc_lo, exec_lo
	s_branch .LBB5_24
.LBB5_31:
	s_or_b32 exec_lo, exec_lo, s2
.LBB5_32:
	s_wait_kmcnt 0x0
	v_lshl_add_u64 v[0:1], v[0:1], 2, s[8:9]
	v_lshl_add_u32 v2, v5, 2, v4
	s_mov_b32 s0, 0
	global_load_b32 v1, v[0:1], off
	s_wait_xcnt 0x0
	v_or_b32_e32 v0, -16, v5
	s_wait_loadcnt 0x0
	v_subrev_nc_u32_e32 v1, s6, v1
	s_branch .LBB5_34
.LBB5_33:                               ;   in Loop: Header=BB5_34 Depth=1
	s_wait_xcnt 0x0
	s_or_b32 exec_lo, exec_lo, s1
	v_add_co_u32 v0, s1, v0, 16
	s_xor_b32 s1, s1, -1
	v_add_nc_u32_e32 v2, 64, v2
	s_and_b32 s1, exec_lo, s1
	s_delay_alu instid0(SALU_CYCLE_1) | instskip(NEXT) | instid1(SALU_CYCLE_1)
	s_or_b32 s0, s1, s0
	s_and_not1_b32 exec_lo, exec_lo, s0
	s_cbranch_execz .LBB5_36
.LBB5_34:                               ; =>This Inner Loop Header: Depth=1
	ds_load_b32 v3, v2
	s_mov_b32 s1, exec_lo
	s_wait_dscnt 0x0
	v_cmpx_gt_i32_e64 s3, v3
	s_cbranch_execz .LBB5_33
; %bb.35:                               ;   in Loop: Header=BB5_34 Depth=1
	ds_load_b128 v[6:9], v4
	ds_load_b128 v[10:13], v4 offset:16
	ds_load_b128 v[14:17], v4 offset:32
	;; [unrolled: 1-line block ×7, first 2 shown]
	s_wait_dscnt 0x7
	v_cmp_gt_i32_e32 vcc_lo, v3, v6
	v_cndmask_b32_e64 v5, 0, 1, vcc_lo
	v_cmp_gt_i32_e32 vcc_lo, v3, v8
	v_cndmask_b32_e64 v6, 0, 1, vcc_lo
	v_cmp_gt_i32_e32 vcc_lo, v3, v7
	s_delay_alu instid0(VALU_DEP_4)
	v_add_co_ci_u32_e64 v5, null, v1, v5, vcc_lo
	s_wait_dscnt 0x6
	v_cmp_gt_i32_e32 vcc_lo, v3, v10
	v_cndmask_b32_e64 v7, 0, 1, vcc_lo
	v_cmp_gt_i32_e32 vcc_lo, v3, v9
	v_add_co_ci_u32_e64 v5, null, v5, v6, vcc_lo
	v_cmp_gt_i32_e32 vcc_lo, v3, v12
	v_cndmask_b32_e64 v6, 0, 1, vcc_lo
	v_cmp_gt_i32_e32 vcc_lo, v3, v11
	s_delay_alu instid0(VALU_DEP_4)
	v_add_co_ci_u32_e64 v5, null, v5, v7, vcc_lo
	s_wait_dscnt 0x5
	v_cmp_gt_i32_e32 vcc_lo, v3, v14
	v_cndmask_b32_e64 v7, 0, 1, vcc_lo
	v_cmp_gt_i32_e32 vcc_lo, v3, v13
	v_add_co_ci_u32_e64 v5, null, v5, v6, vcc_lo
	;; [unrolled: 10-line block ×7, first 2 shown]
	v_cmp_gt_i32_e32 vcc_lo, v3, v36
	v_cndmask_b32_e64 v6, 0, 1, vcc_lo
	v_cmp_gt_i32_e32 vcc_lo, v3, v35
	s_delay_alu instid0(VALU_DEP_4) | instskip(SKIP_2) | instid1(VALU_DEP_3)
	v_add_co_ci_u32_e64 v5, null, v5, v7, vcc_lo
	v_cmp_gt_i32_e32 vcc_lo, v3, v37
	v_add_nc_u32_e32 v3, s6, v3
	v_add_co_ci_u32_e64 v5, null, v5, v6, vcc_lo
	global_store_b32 v5, v3, s[10:11] scale_offset
	s_branch .LBB5_33
.LBB5_36:
	s_endpgm
	.section	.rodata,"a",@progbits
	.p2align	6, 0x0
	.amdhsa_kernel _ZN9rocsparseL32csrgemm_symbolic_fill_wf_per_rowILj256ELj16ELj32ELj137EiiEEvT4_S1_PKS1_S3_PKT3_S3_S6_S3_S6_S3_S6_PS1_21rocsparse_index_base_S8_S8_S8_bb
		.amdhsa_group_segment_fixed_size 2048
		.amdhsa_private_segment_fixed_size 0
		.amdhsa_kernarg_size 108
		.amdhsa_user_sgpr_count 2
		.amdhsa_user_sgpr_dispatch_ptr 0
		.amdhsa_user_sgpr_queue_ptr 0
		.amdhsa_user_sgpr_kernarg_segment_ptr 1
		.amdhsa_user_sgpr_dispatch_id 0
		.amdhsa_user_sgpr_kernarg_preload_length 0
		.amdhsa_user_sgpr_kernarg_preload_offset 0
		.amdhsa_user_sgpr_private_segment_size 0
		.amdhsa_wavefront_size32 1
		.amdhsa_uses_dynamic_stack 0
		.amdhsa_enable_private_segment 0
		.amdhsa_system_sgpr_workgroup_id_x 1
		.amdhsa_system_sgpr_workgroup_id_y 0
		.amdhsa_system_sgpr_workgroup_id_z 0
		.amdhsa_system_sgpr_workgroup_info 0
		.amdhsa_system_vgpr_workitem_id 0
		.amdhsa_next_free_vgpr 38
		.amdhsa_next_free_sgpr 23
		.amdhsa_named_barrier_count 0
		.amdhsa_reserve_vcc 1
		.amdhsa_float_round_mode_32 0
		.amdhsa_float_round_mode_16_64 0
		.amdhsa_float_denorm_mode_32 3
		.amdhsa_float_denorm_mode_16_64 3
		.amdhsa_fp16_overflow 0
		.amdhsa_memory_ordered 1
		.amdhsa_forward_progress 1
		.amdhsa_inst_pref_size 14
		.amdhsa_round_robin_scheduling 0
		.amdhsa_exception_fp_ieee_invalid_op 0
		.amdhsa_exception_fp_denorm_src 0
		.amdhsa_exception_fp_ieee_div_zero 0
		.amdhsa_exception_fp_ieee_overflow 0
		.amdhsa_exception_fp_ieee_underflow 0
		.amdhsa_exception_fp_ieee_inexact 0
		.amdhsa_exception_int_div_zero 0
	.end_amdhsa_kernel
	.section	.text._ZN9rocsparseL32csrgemm_symbolic_fill_wf_per_rowILj256ELj16ELj32ELj137EiiEEvT4_S1_PKS1_S3_PKT3_S3_S6_S3_S6_S3_S6_PS1_21rocsparse_index_base_S8_S8_S8_bb,"axG",@progbits,_ZN9rocsparseL32csrgemm_symbolic_fill_wf_per_rowILj256ELj16ELj32ELj137EiiEEvT4_S1_PKS1_S3_PKT3_S3_S6_S3_S6_S3_S6_PS1_21rocsparse_index_base_S8_S8_S8_bb,comdat
.Lfunc_end5:
	.size	_ZN9rocsparseL32csrgemm_symbolic_fill_wf_per_rowILj256ELj16ELj32ELj137EiiEEvT4_S1_PKS1_S3_PKT3_S3_S6_S3_S6_S3_S6_PS1_21rocsparse_index_base_S8_S8_S8_bb, .Lfunc_end5-_ZN9rocsparseL32csrgemm_symbolic_fill_wf_per_rowILj256ELj16ELj32ELj137EiiEEvT4_S1_PKS1_S3_PKT3_S3_S6_S3_S6_S3_S6_PS1_21rocsparse_index_base_S8_S8_S8_bb
                                        ; -- End function
	.set _ZN9rocsparseL32csrgemm_symbolic_fill_wf_per_rowILj256ELj16ELj32ELj137EiiEEvT4_S1_PKS1_S3_PKT3_S3_S6_S3_S6_S3_S6_PS1_21rocsparse_index_base_S8_S8_S8_bb.num_vgpr, 38
	.set _ZN9rocsparseL32csrgemm_symbolic_fill_wf_per_rowILj256ELj16ELj32ELj137EiiEEvT4_S1_PKS1_S3_PKT3_S3_S6_S3_S6_S3_S6_PS1_21rocsparse_index_base_S8_S8_S8_bb.num_agpr, 0
	.set _ZN9rocsparseL32csrgemm_symbolic_fill_wf_per_rowILj256ELj16ELj32ELj137EiiEEvT4_S1_PKS1_S3_PKT3_S3_S6_S3_S6_S3_S6_PS1_21rocsparse_index_base_S8_S8_S8_bb.numbered_sgpr, 23
	.set _ZN9rocsparseL32csrgemm_symbolic_fill_wf_per_rowILj256ELj16ELj32ELj137EiiEEvT4_S1_PKS1_S3_PKT3_S3_S6_S3_S6_S3_S6_PS1_21rocsparse_index_base_S8_S8_S8_bb.num_named_barrier, 0
	.set _ZN9rocsparseL32csrgemm_symbolic_fill_wf_per_rowILj256ELj16ELj32ELj137EiiEEvT4_S1_PKS1_S3_PKT3_S3_S6_S3_S6_S3_S6_PS1_21rocsparse_index_base_S8_S8_S8_bb.private_seg_size, 0
	.set _ZN9rocsparseL32csrgemm_symbolic_fill_wf_per_rowILj256ELj16ELj32ELj137EiiEEvT4_S1_PKS1_S3_PKT3_S3_S6_S3_S6_S3_S6_PS1_21rocsparse_index_base_S8_S8_S8_bb.uses_vcc, 1
	.set _ZN9rocsparseL32csrgemm_symbolic_fill_wf_per_rowILj256ELj16ELj32ELj137EiiEEvT4_S1_PKS1_S3_PKT3_S3_S6_S3_S6_S3_S6_PS1_21rocsparse_index_base_S8_S8_S8_bb.uses_flat_scratch, 0
	.set _ZN9rocsparseL32csrgemm_symbolic_fill_wf_per_rowILj256ELj16ELj32ELj137EiiEEvT4_S1_PKS1_S3_PKT3_S3_S6_S3_S6_S3_S6_PS1_21rocsparse_index_base_S8_S8_S8_bb.has_dyn_sized_stack, 0
	.set _ZN9rocsparseL32csrgemm_symbolic_fill_wf_per_rowILj256ELj16ELj32ELj137EiiEEvT4_S1_PKS1_S3_PKT3_S3_S6_S3_S6_S3_S6_PS1_21rocsparse_index_base_S8_S8_S8_bb.has_recursion, 0
	.set _ZN9rocsparseL32csrgemm_symbolic_fill_wf_per_rowILj256ELj16ELj32ELj137EiiEEvT4_S1_PKS1_S3_PKT3_S3_S6_S3_S6_S3_S6_PS1_21rocsparse_index_base_S8_S8_S8_bb.has_indirect_call, 0
	.section	.AMDGPU.csdata,"",@progbits
; Kernel info:
; codeLenInByte = 1708
; TotalNumSgprs: 25
; NumVgprs: 38
; ScratchSize: 0
; MemoryBound: 0
; FloatMode: 240
; IeeeMode: 1
; LDSByteSize: 2048 bytes/workgroup (compile time only)
; SGPRBlocks: 0
; VGPRBlocks: 2
; NumSGPRsForWavesPerEU: 25
; NumVGPRsForWavesPerEU: 38
; NamedBarCnt: 0
; Occupancy: 16
; WaveLimiterHint : 1
; COMPUTE_PGM_RSRC2:SCRATCH_EN: 0
; COMPUTE_PGM_RSRC2:USER_SGPR: 2
; COMPUTE_PGM_RSRC2:TRAP_HANDLER: 0
; COMPUTE_PGM_RSRC2:TGID_X_EN: 1
; COMPUTE_PGM_RSRC2:TGID_Y_EN: 0
; COMPUTE_PGM_RSRC2:TGID_Z_EN: 0
; COMPUTE_PGM_RSRC2:TIDIG_COMP_CNT: 0
	.section	.text._ZN9rocsparseL35csrgemm_symbolic_fill_block_per_rowILj128ELj16ELj256ELj137ELj32EiiEEvT5_PKS1_S3_PKT4_S3_S6_S3_S6_S3_S6_PS1_21rocsparse_index_base_S8_S8_S8_bb,"axG",@progbits,_ZN9rocsparseL35csrgemm_symbolic_fill_block_per_rowILj128ELj16ELj256ELj137ELj32EiiEEvT5_PKS1_S3_PKT4_S3_S6_S3_S6_S3_S6_PS1_21rocsparse_index_base_S8_S8_S8_bb,comdat
	.globl	_ZN9rocsparseL35csrgemm_symbolic_fill_block_per_rowILj128ELj16ELj256ELj137ELj32EiiEEvT5_PKS1_S3_PKT4_S3_S6_S3_S6_S3_S6_PS1_21rocsparse_index_base_S8_S8_S8_bb ; -- Begin function _ZN9rocsparseL35csrgemm_symbolic_fill_block_per_rowILj128ELj16ELj256ELj137ELj32EiiEEvT5_PKS1_S3_PKT4_S3_S6_S3_S6_S3_S6_PS1_21rocsparse_index_base_S8_S8_S8_bb
	.p2align	8
	.type	_ZN9rocsparseL35csrgemm_symbolic_fill_block_per_rowILj128ELj16ELj256ELj137ELj32EiiEEvT5_PKS1_S3_PKT4_S3_S6_S3_S6_S3_S6_PS1_21rocsparse_index_base_S8_S8_S8_bb,@function
_ZN9rocsparseL35csrgemm_symbolic_fill_block_per_rowILj128ELj16ELj256ELj137ELj32EiiEEvT5_PKS1_S3_PKT4_S3_S6_S3_S6_S3_S6_PS1_21rocsparse_index_base_S8_S8_S8_bb: ; @_ZN9rocsparseL35csrgemm_symbolic_fill_block_per_rowILj128ELj16ELj256ELj137ELj32EiiEEvT5_PKS1_S3_PKT4_S3_S6_S3_S6_S3_S6_PS1_21rocsparse_index_base_S8_S8_S8_bb
; %bb.0:
	s_clause 0x5
	s_load_b32 s26, s[0:1], 0x0
	s_load_b128 s[8:11], s[0:1], 0x8
	s_load_b64 s[12:13], s[0:1], 0x50
	s_load_b64 s[2:3], s[0:1], 0x40
	;; [unrolled: 1-line block ×4, first 2 shown]
	v_cmp_gt_u32_e32 vcc_lo, 0x100, v0
	v_lshl_add_u32 v1, v0, 2, 0
	s_and_saveexec_b32 s6, vcc_lo
	s_cbranch_execz .LBB6_7
; %bb.1:
	v_lshl_add_u32 v2, v0, 2, 0
	s_mov_b32 s7, 0
	s_mov_b32 s4, 0
	s_branch .LBB6_3
.LBB6_2:                                ;   in Loop: Header=BB6_3 Depth=1
	s_or_b32 exec_lo, exec_lo, s14
	s_add_co_i32 s4, s4, 2
	v_add_nc_u32_e32 v2, 0x400, v2
	v_cmp_eq_u32_e64 s5, 2, s4
	s_or_b32 s7, s5, s7
	s_delay_alu instid0(SALU_CYCLE_1)
	s_and_not1_b32 exec_lo, exec_lo, s7
	s_cbranch_execz .LBB6_7
.LBB6_3:                                ; =>This Inner Loop Header: Depth=1
	s_mov_b32 s5, s4
	s_delay_alu instid0(SALU_CYCLE_1) | instskip(NEXT) | instid1(SALU_CYCLE_1)
	s_or_b64 s[14:15], s[4:5], 0x100000000
	v_cmp_le_u32_e64 s5, s15, 1
	v_cmp_le_u32_e64 s15, s14, 1
	s_and_saveexec_b32 s14, s15
	s_cbranch_execz .LBB6_5
; %bb.4:                                ;   in Loop: Header=BB6_3 Depth=1
	s_wait_kmcnt 0x0
	v_mov_b32_e32 v3, s26
	ds_store_b32 v2, v3
.LBB6_5:                                ;   in Loop: Header=BB6_3 Depth=1
	s_or_b32 exec_lo, exec_lo, s14
	s_and_saveexec_b32 s14, s5
	s_cbranch_execz .LBB6_2
; %bb.6:                                ;   in Loop: Header=BB6_3 Depth=1
	s_wait_kmcnt 0x0
	v_mov_b32_e32 v3, s26
	ds_store_b32 v2, v3 offset:512
	s_branch .LBB6_2
.LBB6_7:
	s_or_b32 exec_lo, exec_lo, s6
	s_clause 0x3
	s_load_b64 s[14:15], s[0:1], 0x48
	s_load_b64 s[24:25], s[0:1], 0x18
	;; [unrolled: 1-line block ×4, first 2 shown]
	s_wait_dscnt 0x0
	s_barrier_signal -1
	s_barrier_wait -1
	s_wait_kmcnt 0x0
	s_load_b32 s4, s[8:9], 0x0
	s_bfe_u32 s5, ttmp6, 0x4000c
	s_and_b32 s6, ttmp6, 15
	s_add_co_i32 s5, s5, 1
	s_getreg_b32 s7, hwreg(HW_REG_IB_STS2, 6, 4)
	s_mul_i32 s5, ttmp9, s5
	s_load_b32 s27, s[0:1], 0x68
	s_add_co_i32 s6, s6, s5
	s_cmp_eq_u32 s7, 0
	s_cselect_b32 s5, ttmp9, s6
	s_wait_kmcnt 0x0
	s_add_co_i32 s9, s4, s5
	s_load_b128 s[4:7], s[0:1], 0x58
	s_load_b32 s8, s[10:11], s9 offset:0x0 scale_offset
	s_bitcmp0_b32 s27, 0
	s_cbranch_scc1 .LBB6_23
; %bb.8:
	s_wait_kmcnt 0x0
	s_ashr_i32 s9, s8, 31
	v_lshrrev_b32_e32 v2, 4, v0
	s_lshl_b64 s[0:1], s[8:9], 2
	s_mov_b32 s9, exec_lo
	s_add_nc_u64 s[0:1], s[24:25], s[0:1]
	s_delay_alu instid0(VALU_DEP_1) | instskip(SKIP_2) | instid1(VALU_DEP_1)
	v_subrev_nc_u32_e32 v2, s4, v2
	s_load_b64 s[10:11], s[0:1], 0x0
	s_wait_kmcnt 0x0
	v_add_nc_u32_e32 v2, s10, v2
	s_sub_co_i32 s1, s11, s4
	s_delay_alu instid0(VALU_DEP_1) | instid1(SALU_CYCLE_1)
	v_cmpx_gt_i32_e64 s1, v2
	s_cbranch_execz .LBB6_22
; %bb.9:
	v_and_b32_e32 v3, 15, v0
	s_mov_b32 s10, 0
	s_delay_alu instid0(VALU_DEP_1)
	v_subrev_nc_u32_e32 v3, s5, v3
	s_branch .LBB6_11
.LBB6_10:                               ;   in Loop: Header=BB6_11 Depth=1
	s_or_b32 exec_lo, exec_lo, s11
	v_add_nc_u32_e32 v2, 8, v2
	s_delay_alu instid0(VALU_DEP_1) | instskip(SKIP_1) | instid1(SALU_CYCLE_1)
	v_cmp_le_i32_e64 s0, s1, v2
	s_or_b32 s10, s0, s10
	s_and_not1_b32 exec_lo, exec_lo, s10
	s_cbranch_execz .LBB6_22
.LBB6_11:                               ; =>This Loop Header: Depth=1
                                        ;     Child Loop BB6_14 Depth 2
                                        ;       Child Loop BB6_17 Depth 3
	global_load_b32 v4, v2, s[16:17] scale_offset
	s_mov_b32 s11, exec_lo
	s_wait_loadcnt 0x0
	v_subrev_nc_u32_e32 v4, s4, v4
	s_delay_alu instid0(VALU_DEP_1) | instskip(NEXT) | instid1(VALU_DEP_1)
	v_ashrrev_i32_e32 v5, 31, v4
	v_lshl_add_u64 v[4:5], v[4:5], 2, s[22:23]
	global_load_b64 v[6:7], v[4:5], off
	s_wait_loadcnt 0x0
	v_subrev_nc_u32_e32 v4, s5, v7
	v_add_nc_u32_e32 v5, v6, v3
	s_delay_alu instid0(VALU_DEP_1)
	v_cmpx_lt_i32_e64 v5, v4
	s_cbranch_execz .LBB6_10
; %bb.12:                               ;   in Loop: Header=BB6_11 Depth=1
	s_mov_b32 s24, 0
	s_branch .LBB6_14
.LBB6_13:                               ;   in Loop: Header=BB6_14 Depth=2
	s_or_b32 exec_lo, exec_lo, s25
	v_add_nc_u32_e32 v5, 16, v5
	s_delay_alu instid0(VALU_DEP_1) | instskip(SKIP_1) | instid1(SALU_CYCLE_1)
	v_cmp_ge_i32_e64 s0, v5, v4
	s_or_b32 s24, s0, s24
	s_and_not1_b32 exec_lo, exec_lo, s24
	s_cbranch_execz .LBB6_10
.LBB6_14:                               ;   Parent Loop BB6_11 Depth=1
                                        ; =>  This Loop Header: Depth=2
                                        ;       Child Loop BB6_17 Depth 3
	global_load_b32 v6, v5, s[18:19] scale_offset
	s_mov_b32 s25, 0
                                        ; implicit-def: $sgpr28
	s_wait_loadcnt 0x0
	v_subrev_nc_u32_e32 v6, s5, v6
	s_delay_alu instid0(VALU_DEP_1) | instskip(NEXT) | instid1(VALU_DEP_1)
	v_mul_lo_u32 v7, 0x89, v6
	v_and_b32_e32 v7, 0xff, v7
	s_branch .LBB6_17
.LBB6_15:                               ;   in Loop: Header=BB6_17 Depth=3
	s_or_b32 exec_lo, exec_lo, s30
	s_delay_alu instid0(SALU_CYCLE_1) | instskip(SKIP_1) | instid1(SALU_CYCLE_1)
	s_and_not1_b32 s28, s28, exec_lo
	s_and_b32 s0, s0, exec_lo
	s_or_b32 s28, s28, s0
.LBB6_16:                               ;   in Loop: Header=BB6_17 Depth=3
	s_or_b32 exec_lo, exec_lo, s29
	s_xor_b32 s0, s28, -1
	s_delay_alu instid0(SALU_CYCLE_1) | instskip(NEXT) | instid1(SALU_CYCLE_1)
	s_and_b32 s0, exec_lo, s0
	s_or_b32 s25, s0, s25
	s_delay_alu instid0(SALU_CYCLE_1)
	s_and_not1_b32 exec_lo, exec_lo, s25
	s_cbranch_execz .LBB6_13
.LBB6_17:                               ;   Parent Loop BB6_11 Depth=1
                                        ;     Parent Loop BB6_14 Depth=2
                                        ; =>    This Inner Loop Header: Depth=3
	s_delay_alu instid0(VALU_DEP_1)
	v_lshl_add_u32 v8, v7, 2, 0
	s_and_not1_b32 s28, s28, exec_lo
	s_mov_b32 s29, exec_lo
	ds_load_b32 v9, v8
	s_wait_dscnt 0x0
	v_cmpx_ne_u32_e64 v9, v6
	s_cbranch_execz .LBB6_16
; %bb.18:                               ;   in Loop: Header=BB6_17 Depth=3
	v_cmp_ne_u32_e64 s0, s26, v9
	s_and_saveexec_b32 s30, s0
	s_delay_alu instid0(SALU_CYCLE_1)
	s_xor_b32 s0, exec_lo, s30
; %bb.19:                               ;   in Loop: Header=BB6_17 Depth=3
	v_add_nc_u32_e32 v7, 1, v7
                                        ; implicit-def: $vgpr8
	s_delay_alu instid0(VALU_DEP_1)
	v_and_b32_e32 v7, 0xff, v7
; %bb.20:                               ;   in Loop: Header=BB6_17 Depth=3
	s_or_saveexec_b32 s30, s0
	s_mov_b32 s0, -1
	s_xor_b32 exec_lo, exec_lo, s30
	s_cbranch_execz .LBB6_15
; %bb.21:                               ;   in Loop: Header=BB6_17 Depth=3
	v_mov_b32_e32 v9, s26
	ds_cmpstore_rtn_b32 v8, v8, v6, v9
	s_wait_dscnt 0x0
	v_cmp_ne_u32_e64 s0, s26, v8
	s_or_not1_b32 s0, s0, exec_lo
	s_branch .LBB6_15
.LBB6_22:
	s_or_b32 exec_lo, exec_lo, s9
.LBB6_23:
	s_wait_xcnt 0x0
	s_bfe_u32 s0, s27, 0x10008
	s_delay_alu instid0(SALU_CYCLE_1)
	s_cmp_eq_u32 s0, 0
	s_cbranch_scc1 .LBB6_36
; %bb.24:
	s_wait_kmcnt 0x0
	s_ashr_i32 s9, s8, 31
	v_subrev_nc_u32_e32 v2, s7, v0
	s_lshl_b64 s[0:1], s[8:9], 2
	s_delay_alu instid0(SALU_CYCLE_1)
	s_add_nc_u64 s[0:1], s[20:21], s[0:1]
	s_load_b64 s[4:5], s[0:1], 0x0
	s_wait_kmcnt 0x0
	v_add_nc_u32_e32 v2, s4, v2
	s_sub_co_i32 s1, s5, s7
	s_mov_b32 s4, exec_lo
	s_delay_alu instid0(VALU_DEP_1)
	v_cmpx_gt_i32_e64 s1, v2
	s_cbranch_execz .LBB6_35
; %bb.25:
	s_mov_b32 s5, 0
	s_branch .LBB6_27
.LBB6_26:                               ;   in Loop: Header=BB6_27 Depth=1
	s_or_b32 exec_lo, exec_lo, s9
	v_add_nc_u32_e32 v2, 0x80, v2
	s_delay_alu instid0(VALU_DEP_1) | instskip(SKIP_1) | instid1(SALU_CYCLE_1)
	v_cmp_le_i32_e64 s0, s1, v2
	s_or_b32 s5, s0, s5
	s_and_not1_b32 exec_lo, exec_lo, s5
	s_cbranch_execz .LBB6_35
.LBB6_27:                               ; =>This Loop Header: Depth=1
                                        ;     Child Loop BB6_30 Depth 2
	global_load_b32 v3, v2, s[2:3] scale_offset
	s_mov_b32 s9, 0
                                        ; implicit-def: $sgpr10
	s_wait_loadcnt 0x0
	v_subrev_nc_u32_e32 v3, s7, v3
	s_delay_alu instid0(VALU_DEP_1) | instskip(NEXT) | instid1(VALU_DEP_1)
	v_mul_lo_u32 v4, 0x89, v3
	v_and_b32_e32 v4, 0xff, v4
	s_branch .LBB6_30
.LBB6_28:                               ;   in Loop: Header=BB6_30 Depth=2
	s_or_b32 exec_lo, exec_lo, s16
	s_delay_alu instid0(SALU_CYCLE_1) | instskip(SKIP_1) | instid1(SALU_CYCLE_1)
	s_and_not1_b32 s10, s10, exec_lo
	s_and_b32 s0, s0, exec_lo
	s_or_b32 s10, s10, s0
.LBB6_29:                               ;   in Loop: Header=BB6_30 Depth=2
	s_or_b32 exec_lo, exec_lo, s11
	s_xor_b32 s0, s10, -1
	s_delay_alu instid0(SALU_CYCLE_1) | instskip(NEXT) | instid1(SALU_CYCLE_1)
	s_and_b32 s0, exec_lo, s0
	s_or_b32 s9, s0, s9
	s_delay_alu instid0(SALU_CYCLE_1)
	s_and_not1_b32 exec_lo, exec_lo, s9
	s_cbranch_execz .LBB6_26
.LBB6_30:                               ;   Parent Loop BB6_27 Depth=1
                                        ; =>  This Inner Loop Header: Depth=2
	s_delay_alu instid0(VALU_DEP_1)
	v_lshl_add_u32 v5, v4, 2, 0
	s_and_not1_b32 s10, s10, exec_lo
	s_mov_b32 s11, exec_lo
	ds_load_b32 v6, v5
	s_wait_dscnt 0x0
	v_cmpx_ne_u32_e64 v6, v3
	s_cbranch_execz .LBB6_29
; %bb.31:                               ;   in Loop: Header=BB6_30 Depth=2
	v_cmp_ne_u32_e64 s0, s26, v6
	s_and_saveexec_b32 s16, s0
	s_delay_alu instid0(SALU_CYCLE_1)
	s_xor_b32 s0, exec_lo, s16
; %bb.32:                               ;   in Loop: Header=BB6_30 Depth=2
	v_add_nc_u32_e32 v4, 1, v4
                                        ; implicit-def: $vgpr5
	s_delay_alu instid0(VALU_DEP_1)
	v_and_b32_e32 v4, 0xff, v4
; %bb.33:                               ;   in Loop: Header=BB6_30 Depth=2
	s_or_saveexec_b32 s16, s0
	s_mov_b32 s0, -1
	s_xor_b32 exec_lo, exec_lo, s16
	s_cbranch_execz .LBB6_28
; %bb.34:                               ;   in Loop: Header=BB6_30 Depth=2
	v_mov_b32_e32 v6, s26
	ds_cmpstore_rtn_b32 v5, v5, v3, v6
	s_wait_dscnt 0x0
	v_cmp_ne_u32_e64 s0, s26, v5
	s_or_not1_b32 s0, s0, exec_lo
	s_branch .LBB6_28
.LBB6_35:
	s_or_b32 exec_lo, exec_lo, s4
.LBB6_36:
	s_barrier_signal -1
	s_barrier_wait -1
	s_wait_kmcnt 0x0
	s_and_saveexec_b32 s4, vcc_lo
	s_cbranch_execz .LBB6_49
; %bb.37:
	v_mbcnt_lo_u32_b32 v2, -1, 0
	v_dual_mov_b32 v3, 0 :: v_dual_lshrrev_b32 v4, 3, v0
	v_cmp_lt_u32_e64 s0, 31, v0
	v_cmp_lt_u32_e64 s1, 63, v0
	s_delay_alu instid0(VALU_DEP_3)
	v_dual_mov_b32 v6, 0 :: v_dual_bitop2_b32 v4, 12, v4 bitop3:0x40
	v_xor_b32_e32 v2, 31, v2
	v_cmp_lt_u32_e64 s2, 0x5f, v0
	v_or_b32_e32 v5, 0xffffff80, v0
	s_mov_b32 s5, 0
	v_add_nc_u32_e32 v4, 0, v4
	v_lshrrev_b32_e64 v2, v2, -1
	v_cmp_eq_u32_e32 vcc_lo, 0x7f, v0
	s_branch .LBB6_39
.LBB6_38:                               ;   in Loop: Header=BB6_39 Depth=1
	s_or_b32 exec_lo, exec_lo, s3
	s_wait_dscnt 0x0
	s_barrier_signal -1
	s_barrier_wait -1
	ds_load_b32 v7, v3 offset:1036
	v_add_co_u32 v5, s3, 0x80, v5
	s_xor_b32 s3, s3, -1
	v_add_nc_u32_e32 v1, 0x200, v1
	s_and_b32 s3, exec_lo, s3
	s_delay_alu instid0(SALU_CYCLE_1)
	s_or_b32 s5, s3, s5
	s_wait_dscnt 0x0
	v_add_nc_u32_e32 v6, v7, v6
	s_and_not1_b32 exec_lo, exec_lo, s5
	s_cbranch_execz .LBB6_49
.LBB6_39:                               ; =>This Inner Loop Header: Depth=1
	ds_load_b32 v7, v1
	s_wait_dscnt 0x0
	s_barrier_signal -1
	s_barrier_wait -1
	v_cmp_gt_i32_e64 s3, s26, v7
	s_bcnt1_i32_b32 s7, s3
	s_delay_alu instid0(SALU_CYCLE_1) | instskip(NEXT) | instid1(VALU_DEP_1)
	v_dual_mov_b32 v9, s7 :: v_dual_bitop2_b32 v8, s3, v2 bitop3:0x40
	v_bcnt_u32_b32 v8, v8, 0
	ds_store_b32 v4, v9 offset:1024
	s_wait_dscnt 0x0
	s_barrier_signal -1
	s_barrier_wait -1
	s_and_saveexec_b32 s7, s0
	s_cbranch_execnz .LBB6_44
; %bb.40:                               ;   in Loop: Header=BB6_39 Depth=1
	s_or_b32 exec_lo, exec_lo, s7
	s_and_saveexec_b32 s7, s1
	s_cbranch_execnz .LBB6_45
.LBB6_41:                               ;   in Loop: Header=BB6_39 Depth=1
	s_or_b32 exec_lo, exec_lo, s7
	s_and_saveexec_b32 s7, s2
	s_cbranch_execnz .LBB6_46
.LBB6_42:                               ;   in Loop: Header=BB6_39 Depth=1
	s_or_b32 exec_lo, exec_lo, s7
	s_and_saveexec_b32 s7, s3
	s_cbranch_execnz .LBB6_47
.LBB6_43:                               ;   in Loop: Header=BB6_39 Depth=1
	s_or_b32 exec_lo, exec_lo, s7
	s_and_saveexec_b32 s3, vcc_lo
	s_cbranch_execz .LBB6_38
	s_branch .LBB6_48
.LBB6_44:                               ;   in Loop: Header=BB6_39 Depth=1
	ds_load_b32 v9, v3 offset:1024
	s_wait_dscnt 0x0
	v_add_nc_u32_e32 v8, v9, v8
	s_or_b32 exec_lo, exec_lo, s7
	s_and_saveexec_b32 s7, s1
	s_cbranch_execz .LBB6_41
.LBB6_45:                               ;   in Loop: Header=BB6_39 Depth=1
	ds_load_b32 v9, v3 offset:1028
	s_wait_dscnt 0x0
	v_add_nc_u32_e32 v8, v9, v8
	s_or_b32 exec_lo, exec_lo, s7
	s_and_saveexec_b32 s7, s2
	s_cbranch_execz .LBB6_42
.LBB6_46:                               ;   in Loop: Header=BB6_39 Depth=1
	ds_load_b32 v9, v3 offset:1032
	s_wait_dscnt 0x0
	v_add_nc_u32_e32 v8, v9, v8
	s_or_b32 exec_lo, exec_lo, s7
	s_and_saveexec_b32 s7, s3
	s_cbranch_execz .LBB6_43
.LBB6_47:                               ;   in Loop: Header=BB6_39 Depth=1
	s_delay_alu instid0(VALU_DEP_1) | instskip(NEXT) | instid1(VALU_DEP_1)
	v_dual_lshlrev_b32 v9, 2, v6 :: v_dual_lshlrev_b32 v10, 2, v8
	v_add_nc_u32_e32 v9, 0, v9
	s_delay_alu instid0(VALU_DEP_1)
	v_add3_u32 v9, v9, v10, -4
	ds_store_b32 v9, v7
	s_or_b32 exec_lo, exec_lo, s7
	s_and_saveexec_b32 s3, vcc_lo
	s_cbranch_execz .LBB6_38
.LBB6_48:                               ;   in Loop: Header=BB6_39 Depth=1
	ds_store_b32 v3, v8 offset:1036
	s_branch .LBB6_38
.LBB6_49:
	s_or_b32 exec_lo, exec_lo, s4
	s_ashr_i32 s9, s8, 31
	s_delay_alu instid0(SALU_CYCLE_1) | instskip(NEXT) | instid1(SALU_CYCLE_1)
	s_lshl_b64 s[0:1], s[8:9], 2
	s_add_nc_u64 s[2:3], s[14:15], s[0:1]
	s_load_b64 s[0:1], s[2:3], 0x0
	s_wait_kmcnt 0x0
	s_sub_co_i32 s4, s1, s0
	s_mov_b32 s1, exec_lo
	v_cmpx_gt_i32_e64 s4, v0
	s_cbranch_execz .LBB6_63
; %bb.50:
	v_sub_co_u32 v1, s1, s4, 2
	s_sub_co_i32 s2, s0, s6
	s_xor_b32 s7, s1, -1
	s_and_b32 s5, s4, -2
	v_readfirstlane_b32 s3, v1
	s_lshr_b32 s0, s3, 1
	s_mov_b32 s3, 0
	s_add_co_i32 s0, s0, 1
	s_mov_b32 s14, s3
	s_and_b32 s1, s0, 7
	s_and_b32 s8, s0, -8
	s_cmp_lg_u32 s1, 0
	v_cmp_lt_u32_e64 s0, 13, v1
	s_cselect_b32 s9, -1, 0
	s_cmp_lg_u32 s4, s5
	s_cselect_b32 s10, -1, 0
	s_lshl_b32 s11, s1, 3
	s_branch .LBB6_52
.LBB6_51:                               ;   in Loop: Header=BB6_52 Depth=1
	v_add_nc_u32_e32 v0, 0x80, v0
	s_wait_dscnt 0x0
	v_add_nc_u32_e32 v1, s6, v1
	s_delay_alu instid0(VALU_DEP_2)
	v_cmp_le_i32_e32 vcc_lo, s4, v0
	global_store_b32 v2, v1, s[12:13] scale_offset
	s_or_b32 s14, vcc_lo, s14
	s_wait_xcnt 0x0
	s_and_not1_b32 exec_lo, exec_lo, s14
	s_cbranch_execz .LBB6_63
.LBB6_52:                               ; =>This Loop Header: Depth=1
                                        ;     Child Loop BB6_55 Depth 2
                                        ;     Child Loop BB6_58 Depth 2
	;; [unrolled: 1-line block ×3, first 2 shown]
	v_lshl_add_u32 v1, v0, 2, 0
	v_mov_b32_e32 v2, s2
	s_and_not1_b32 vcc_lo, exec_lo, s7
	s_mov_b32 s1, 0
	s_mov_b32 s15, -1
	ds_load_b32 v1, v1
	s_cbranch_vccnz .LBB6_60
; %bb.53:                               ;   in Loop: Header=BB6_52 Depth=1
	v_mov_b64_e32 v[2:3], s[2:3]
	s_and_not1_b32 vcc_lo, exec_lo, s0
	s_mov_b32 s15, 0
	s_cbranch_vccnz .LBB6_56
; %bb.54:                               ;   in Loop: Header=BB6_52 Depth=1
	v_dual_mov_b32 v2, s2 :: v_dual_mov_b32 v3, 0
	s_mov_b32 s16, 0
	s_mov_b32 s17, s8
.LBB6_55:                               ;   Parent Loop BB6_52 Depth=1
                                        ; =>  This Inner Loop Header: Depth=2
	v_mov_b32_e32 v18, s16
	s_add_co_i32 s17, s17, -8
	s_add_co_i32 s15, s15, 16
	s_add_co_i32 s16, s16, 64
	s_cmp_lg_u32 s17, 0
	ds_load_2addr_b32 v[4:5], v18 offset1:1
	ds_load_2addr_b32 v[6:7], v18 offset0:2 offset1:3
	ds_load_2addr_b32 v[8:9], v18 offset0:4 offset1:5
	;; [unrolled: 1-line block ×7, first 2 shown]
	s_wait_dscnt 0x7
	v_cmp_gt_i32_e32 vcc_lo, v1, v5
	s_wait_dscnt 0x5
	v_cmp_gt_i32_e64 s1, v1, v8
	v_cndmask_b32_e64 v5, 0, 1, vcc_lo
	v_cmp_gt_i32_e32 vcc_lo, v1, v4
	v_cndmask_b32_e64 v4, 0, 1, vcc_lo
	v_cmp_gt_i32_e32 vcc_lo, v1, v6
	v_cndmask_b32_e64 v6, 0, 1, s1
	v_cmp_gt_i32_e64 s1, v1, v9
	s_delay_alu instid0(VALU_DEP_4) | instskip(NEXT) | instid1(VALU_DEP_2)
	v_add_co_ci_u32_e64 v2, null, v2, v4, vcc_lo
	v_cndmask_b32_e64 v8, 0, 1, s1
	s_wait_dscnt 0x4
	v_cmp_gt_i32_e64 s1, v1, v11
	s_wait_dscnt 0x2
	v_cmp_gt_i32_e32 vcc_lo, v1, v14
	s_delay_alu instid0(VALU_DEP_2) | instskip(SKIP_4) | instid1(VALU_DEP_3)
	v_cndmask_b32_e64 v9, 0, 1, s1
	v_cmp_gt_i32_e64 s1, v1, v10
	v_add_co_ci_u32_e64 v2, null, v2, v6, vcc_lo
	s_wait_dscnt 0x1
	v_cmp_gt_i32_e32 vcc_lo, v1, v16
	v_cndmask_b32_e64 v10, 0, 1, s1
	v_cmp_gt_i32_e64 s1, v1, v12
	s_delay_alu instid0(VALU_DEP_2) | instskip(NEXT) | instid1(VALU_DEP_2)
	v_add_co_ci_u32_e64 v2, null, v2, v10, vcc_lo
	v_cndmask_b32_e64 v11, 0, 1, s1
	v_cmp_gt_i32_e64 s1, v1, v13
	s_wait_dscnt 0x0
	v_cmp_gt_i32_e32 vcc_lo, v1, v18
	s_delay_alu instid0(VALU_DEP_2) | instskip(SKIP_2) | instid1(VALU_DEP_2)
	v_cndmask_b32_e64 v12, 0, 1, s1
	v_cmp_gt_i32_e64 s1, v1, v7
	v_add_co_ci_u32_e64 v2, null, v2, v11, vcc_lo
	v_add_co_ci_u32_e64 v3, null, v3, v5, s1
	v_cmp_gt_i32_e64 s1, v1, v15
	s_delay_alu instid0(VALU_DEP_1) | instskip(SKIP_1) | instid1(VALU_DEP_1)
	v_add_co_ci_u32_e64 v3, null, v3, v8, s1
	v_cmp_gt_i32_e64 s1, v1, v17
	v_add_co_ci_u32_e64 v3, null, v3, v9, s1
	v_cmp_gt_i32_e64 s1, v1, v19
	s_delay_alu instid0(VALU_DEP_1)
	v_add_co_ci_u32_e64 v3, null, v3, v12, s1
	s_cbranch_scc1 .LBB6_55
.LBB6_56:                               ;   in Loop: Header=BB6_52 Depth=1
	s_and_not1_b32 vcc_lo, exec_lo, s9
	s_cbranch_vccnz .LBB6_59
; %bb.57:                               ;   in Loop: Header=BB6_52 Depth=1
	s_lshl_b32 s1, s15, 2
	s_mov_b32 s15, s11
	s_add_co_i32 s1, s1, 0
.LBB6_58:                               ;   Parent Loop BB6_52 Depth=1
                                        ; =>  This Inner Loop Header: Depth=2
	s_delay_alu instid0(SALU_CYCLE_1)
	v_mov_b32_e32 v4, s1
	s_add_co_i32 s15, s15, -8
	s_add_co_i32 s1, s1, 8
	s_cmp_lg_u32 s15, 0
	ds_load_2addr_b32 v[4:5], v4 offset1:1
	s_wait_dscnt 0x0
	v_cmp_gt_i32_e32 vcc_lo, v1, v5
	v_add_co_ci_u32_e64 v3, null, 0, v3, vcc_lo
	v_cmp_gt_i32_e32 vcc_lo, v1, v4
	v_add_co_ci_u32_e64 v2, null, 0, v2, vcc_lo
	s_cbranch_scc1 .LBB6_58
.LBB6_59:                               ;   in Loop: Header=BB6_52 Depth=1
	s_delay_alu instid0(VALU_DEP_1)
	v_add_nc_u32_e32 v2, v2, v3
	s_mov_b32 s1, s5
	s_mov_b32 s15, s10
.LBB6_60:                               ;   in Loop: Header=BB6_52 Depth=1
	s_delay_alu instid0(SALU_CYCLE_1)
	s_and_b32 vcc_lo, exec_lo, s15
	s_cbranch_vccz .LBB6_51
; %bb.61:                               ;   in Loop: Header=BB6_52 Depth=1
	s_lshl_b32 s15, s1, 2
	s_delay_alu instid0(SALU_CYCLE_1)
	s_add_co_i32 s15, s15, 0
.LBB6_62:                               ;   Parent Loop BB6_52 Depth=1
                                        ; =>  This Inner Loop Header: Depth=2
	s_delay_alu instid0(SALU_CYCLE_1)
	v_mov_b32_e32 v3, s15
	s_add_co_i32 s1, s1, 1
	s_add_co_i32 s15, s15, 4
	s_cmp_ge_i32 s1, s4
	ds_load_b32 v3, v3
	s_wait_dscnt 0x0
	v_cmp_gt_i32_e32 vcc_lo, v1, v3
	v_add_co_ci_u32_e64 v2, null, 0, v2, vcc_lo
	s_cbranch_scc0 .LBB6_62
	s_branch .LBB6_51
.LBB6_63:
	s_endpgm
	.section	.rodata,"a",@progbits
	.p2align	6, 0x0
	.amdhsa_kernel _ZN9rocsparseL35csrgemm_symbolic_fill_block_per_rowILj128ELj16ELj256ELj137ELj32EiiEEvT5_PKS1_S3_PKT4_S3_S6_S3_S6_S3_S6_PS1_21rocsparse_index_base_S8_S8_S8_bb
		.amdhsa_group_segment_fixed_size 0
		.amdhsa_private_segment_fixed_size 0
		.amdhsa_kernarg_size 108
		.amdhsa_user_sgpr_count 2
		.amdhsa_user_sgpr_dispatch_ptr 0
		.amdhsa_user_sgpr_queue_ptr 0
		.amdhsa_user_sgpr_kernarg_segment_ptr 1
		.amdhsa_user_sgpr_dispatch_id 0
		.amdhsa_user_sgpr_kernarg_preload_length 0
		.amdhsa_user_sgpr_kernarg_preload_offset 0
		.amdhsa_user_sgpr_private_segment_size 0
		.amdhsa_wavefront_size32 1
		.amdhsa_uses_dynamic_stack 0
		.amdhsa_enable_private_segment 0
		.amdhsa_system_sgpr_workgroup_id_x 1
		.amdhsa_system_sgpr_workgroup_id_y 0
		.amdhsa_system_sgpr_workgroup_id_z 0
		.amdhsa_system_sgpr_workgroup_info 0
		.amdhsa_system_vgpr_workitem_id 0
		.amdhsa_next_free_vgpr 20
		.amdhsa_next_free_sgpr 31
		.amdhsa_named_barrier_count 0
		.amdhsa_reserve_vcc 1
		.amdhsa_float_round_mode_32 0
		.amdhsa_float_round_mode_16_64 0
		.amdhsa_float_denorm_mode_32 3
		.amdhsa_float_denorm_mode_16_64 3
		.amdhsa_fp16_overflow 0
		.amdhsa_memory_ordered 1
		.amdhsa_forward_progress 1
		.amdhsa_inst_pref_size 20
		.amdhsa_round_robin_scheduling 0
		.amdhsa_exception_fp_ieee_invalid_op 0
		.amdhsa_exception_fp_denorm_src 0
		.amdhsa_exception_fp_ieee_div_zero 0
		.amdhsa_exception_fp_ieee_overflow 0
		.amdhsa_exception_fp_ieee_underflow 0
		.amdhsa_exception_fp_ieee_inexact 0
		.amdhsa_exception_int_div_zero 0
	.end_amdhsa_kernel
	.section	.text._ZN9rocsparseL35csrgemm_symbolic_fill_block_per_rowILj128ELj16ELj256ELj137ELj32EiiEEvT5_PKS1_S3_PKT4_S3_S6_S3_S6_S3_S6_PS1_21rocsparse_index_base_S8_S8_S8_bb,"axG",@progbits,_ZN9rocsparseL35csrgemm_symbolic_fill_block_per_rowILj128ELj16ELj256ELj137ELj32EiiEEvT5_PKS1_S3_PKT4_S3_S6_S3_S6_S3_S6_PS1_21rocsparse_index_base_S8_S8_S8_bb,comdat
.Lfunc_end6:
	.size	_ZN9rocsparseL35csrgemm_symbolic_fill_block_per_rowILj128ELj16ELj256ELj137ELj32EiiEEvT5_PKS1_S3_PKT4_S3_S6_S3_S6_S3_S6_PS1_21rocsparse_index_base_S8_S8_S8_bb, .Lfunc_end6-_ZN9rocsparseL35csrgemm_symbolic_fill_block_per_rowILj128ELj16ELj256ELj137ELj32EiiEEvT5_PKS1_S3_PKT4_S3_S6_S3_S6_S3_S6_PS1_21rocsparse_index_base_S8_S8_S8_bb
                                        ; -- End function
	.set _ZN9rocsparseL35csrgemm_symbolic_fill_block_per_rowILj128ELj16ELj256ELj137ELj32EiiEEvT5_PKS1_S3_PKT4_S3_S6_S3_S6_S3_S6_PS1_21rocsparse_index_base_S8_S8_S8_bb.num_vgpr, 20
	.set _ZN9rocsparseL35csrgemm_symbolic_fill_block_per_rowILj128ELj16ELj256ELj137ELj32EiiEEvT5_PKS1_S3_PKT4_S3_S6_S3_S6_S3_S6_PS1_21rocsparse_index_base_S8_S8_S8_bb.num_agpr, 0
	.set _ZN9rocsparseL35csrgemm_symbolic_fill_block_per_rowILj128ELj16ELj256ELj137ELj32EiiEEvT5_PKS1_S3_PKT4_S3_S6_S3_S6_S3_S6_PS1_21rocsparse_index_base_S8_S8_S8_bb.numbered_sgpr, 31
	.set _ZN9rocsparseL35csrgemm_symbolic_fill_block_per_rowILj128ELj16ELj256ELj137ELj32EiiEEvT5_PKS1_S3_PKT4_S3_S6_S3_S6_S3_S6_PS1_21rocsparse_index_base_S8_S8_S8_bb.num_named_barrier, 0
	.set _ZN9rocsparseL35csrgemm_symbolic_fill_block_per_rowILj128ELj16ELj256ELj137ELj32EiiEEvT5_PKS1_S3_PKT4_S3_S6_S3_S6_S3_S6_PS1_21rocsparse_index_base_S8_S8_S8_bb.private_seg_size, 0
	.set _ZN9rocsparseL35csrgemm_symbolic_fill_block_per_rowILj128ELj16ELj256ELj137ELj32EiiEEvT5_PKS1_S3_PKT4_S3_S6_S3_S6_S3_S6_PS1_21rocsparse_index_base_S8_S8_S8_bb.uses_vcc, 1
	.set _ZN9rocsparseL35csrgemm_symbolic_fill_block_per_rowILj128ELj16ELj256ELj137ELj32EiiEEvT5_PKS1_S3_PKT4_S3_S6_S3_S6_S3_S6_PS1_21rocsparse_index_base_S8_S8_S8_bb.uses_flat_scratch, 0
	.set _ZN9rocsparseL35csrgemm_symbolic_fill_block_per_rowILj128ELj16ELj256ELj137ELj32EiiEEvT5_PKS1_S3_PKT4_S3_S6_S3_S6_S3_S6_PS1_21rocsparse_index_base_S8_S8_S8_bb.has_dyn_sized_stack, 0
	.set _ZN9rocsparseL35csrgemm_symbolic_fill_block_per_rowILj128ELj16ELj256ELj137ELj32EiiEEvT5_PKS1_S3_PKT4_S3_S6_S3_S6_S3_S6_PS1_21rocsparse_index_base_S8_S8_S8_bb.has_recursion, 0
	.set _ZN9rocsparseL35csrgemm_symbolic_fill_block_per_rowILj128ELj16ELj256ELj137ELj32EiiEEvT5_PKS1_S3_PKT4_S3_S6_S3_S6_S3_S6_PS1_21rocsparse_index_base_S8_S8_S8_bb.has_indirect_call, 0
	.section	.AMDGPU.csdata,"",@progbits
; Kernel info:
; codeLenInByte = 2488
; TotalNumSgprs: 33
; NumVgprs: 20
; ScratchSize: 0
; MemoryBound: 0
; FloatMode: 240
; IeeeMode: 1
; LDSByteSize: 0 bytes/workgroup (compile time only)
; SGPRBlocks: 0
; VGPRBlocks: 1
; NumSGPRsForWavesPerEU: 33
; NumVGPRsForWavesPerEU: 20
; NamedBarCnt: 0
; Occupancy: 16
; WaveLimiterHint : 1
; COMPUTE_PGM_RSRC2:SCRATCH_EN: 0
; COMPUTE_PGM_RSRC2:USER_SGPR: 2
; COMPUTE_PGM_RSRC2:TRAP_HANDLER: 0
; COMPUTE_PGM_RSRC2:TGID_X_EN: 1
; COMPUTE_PGM_RSRC2:TGID_Y_EN: 0
; COMPUTE_PGM_RSRC2:TGID_Z_EN: 0
; COMPUTE_PGM_RSRC2:TIDIG_COMP_CNT: 0
	.section	.text._ZN9rocsparseL35csrgemm_symbolic_fill_block_per_rowILj128ELj16ELj256ELj137ELj64EiiEEvT5_PKS1_S3_PKT4_S3_S6_S3_S6_S3_S6_PS1_21rocsparse_index_base_S8_S8_S8_bb,"axG",@progbits,_ZN9rocsparseL35csrgemm_symbolic_fill_block_per_rowILj128ELj16ELj256ELj137ELj64EiiEEvT5_PKS1_S3_PKT4_S3_S6_S3_S6_S3_S6_PS1_21rocsparse_index_base_S8_S8_S8_bb,comdat
	.globl	_ZN9rocsparseL35csrgemm_symbolic_fill_block_per_rowILj128ELj16ELj256ELj137ELj64EiiEEvT5_PKS1_S3_PKT4_S3_S6_S3_S6_S3_S6_PS1_21rocsparse_index_base_S8_S8_S8_bb ; -- Begin function _ZN9rocsparseL35csrgemm_symbolic_fill_block_per_rowILj128ELj16ELj256ELj137ELj64EiiEEvT5_PKS1_S3_PKT4_S3_S6_S3_S6_S3_S6_PS1_21rocsparse_index_base_S8_S8_S8_bb
	.p2align	8
	.type	_ZN9rocsparseL35csrgemm_symbolic_fill_block_per_rowILj128ELj16ELj256ELj137ELj64EiiEEvT5_PKS1_S3_PKT4_S3_S6_S3_S6_S3_S6_PS1_21rocsparse_index_base_S8_S8_S8_bb,@function
_ZN9rocsparseL35csrgemm_symbolic_fill_block_per_rowILj128ELj16ELj256ELj137ELj64EiiEEvT5_PKS1_S3_PKT4_S3_S6_S3_S6_S3_S6_PS1_21rocsparse_index_base_S8_S8_S8_bb: ; @_ZN9rocsparseL35csrgemm_symbolic_fill_block_per_rowILj128ELj16ELj256ELj137ELj64EiiEEvT5_PKS1_S3_PKT4_S3_S6_S3_S6_S3_S6_PS1_21rocsparse_index_base_S8_S8_S8_bb
; %bb.0:
	s_clause 0x5
	s_load_b32 s26, s[0:1], 0x0
	s_load_b128 s[8:11], s[0:1], 0x8
	s_load_b64 s[2:3], s[0:1], 0x50
	s_load_b64 s[14:15], s[0:1], 0x40
	;; [unrolled: 1-line block ×4, first 2 shown]
	v_cmp_gt_u32_e32 vcc_lo, 0x100, v0
	v_lshl_add_u32 v1, v0, 2, 0
	s_and_saveexec_b32 s6, vcc_lo
	s_cbranch_execz .LBB7_7
; %bb.1:
	v_lshl_add_u32 v2, v0, 2, 0
	s_mov_b32 s7, 0
	s_mov_b32 s4, 0
	s_branch .LBB7_3
.LBB7_2:                                ;   in Loop: Header=BB7_3 Depth=1
	s_or_b32 exec_lo, exec_lo, s12
	s_add_co_i32 s4, s4, 2
	v_add_nc_u32_e32 v2, 0x400, v2
	v_cmp_eq_u32_e64 s5, 2, s4
	s_or_b32 s7, s5, s7
	s_delay_alu instid0(SALU_CYCLE_1)
	s_and_not1_b32 exec_lo, exec_lo, s7
	s_cbranch_execz .LBB7_7
.LBB7_3:                                ; =>This Inner Loop Header: Depth=1
	s_mov_b32 s5, s4
	s_delay_alu instid0(SALU_CYCLE_1) | instskip(NEXT) | instid1(SALU_CYCLE_1)
	s_or_b64 s[12:13], s[4:5], 0x100000000
	v_cmp_le_u32_e64 s5, s13, 1
	v_cmp_le_u32_e64 s13, s12, 1
	s_and_saveexec_b32 s12, s13
	s_cbranch_execz .LBB7_5
; %bb.4:                                ;   in Loop: Header=BB7_3 Depth=1
	s_wait_kmcnt 0x0
	v_mov_b32_e32 v3, s26
	ds_store_b32 v2, v3
.LBB7_5:                                ;   in Loop: Header=BB7_3 Depth=1
	s_or_b32 exec_lo, exec_lo, s12
	s_and_saveexec_b32 s12, s5
	s_cbranch_execz .LBB7_2
; %bb.6:                                ;   in Loop: Header=BB7_3 Depth=1
	s_wait_kmcnt 0x0
	v_mov_b32_e32 v3, s26
	ds_store_b32 v2, v3 offset:512
	s_branch .LBB7_2
.LBB7_7:
	s_or_b32 exec_lo, exec_lo, s6
	s_clause 0x3
	s_load_b64 s[12:13], s[0:1], 0x48
	s_load_b64 s[24:25], s[0:1], 0x18
	;; [unrolled: 1-line block ×4, first 2 shown]
	s_wait_dscnt 0x0
	s_barrier_signal -1
	s_barrier_wait -1
	s_wait_kmcnt 0x0
	s_load_b32 s4, s[8:9], 0x0
	s_bfe_u32 s5, ttmp6, 0x4000c
	s_and_b32 s6, ttmp6, 15
	s_add_co_i32 s5, s5, 1
	s_getreg_b32 s7, hwreg(HW_REG_IB_STS2, 6, 4)
	s_mul_i32 s5, ttmp9, s5
	s_load_b32 s27, s[0:1], 0x68
	s_add_co_i32 s6, s6, s5
	s_cmp_eq_u32 s7, 0
	v_lshrrev_b32_e32 v2, 4, v0
	s_cselect_b32 s5, ttmp9, s6
	s_wait_kmcnt 0x0
	s_add_co_i32 s9, s4, s5
	s_load_b128 s[4:7], s[0:1], 0x58
	s_load_b32 s8, s[10:11], s9 offset:0x0 scale_offset
	s_bitcmp0_b32 s27, 0
	s_cbranch_scc1 .LBB7_23
; %bb.8:
	s_wait_kmcnt 0x0
	s_ashr_i32 s9, s8, 31
	v_subrev_nc_u32_e32 v3, s4, v2
	s_lshl_b64 s[0:1], s[8:9], 2
	s_mov_b32 s9, exec_lo
	s_add_nc_u64 s[0:1], s[24:25], s[0:1]
	s_load_b64 s[10:11], s[0:1], 0x0
	s_wait_kmcnt 0x0
	v_add_nc_u32_e32 v3, s10, v3
	s_sub_co_i32 s1, s11, s4
	s_delay_alu instid0(VALU_DEP_1) | instid1(SALU_CYCLE_1)
	v_cmpx_gt_i32_e64 s1, v3
	s_cbranch_execz .LBB7_22
; %bb.9:
	v_and_b32_e32 v4, 15, v0
	s_mov_b32 s10, 0
	s_delay_alu instid0(VALU_DEP_1)
	v_subrev_nc_u32_e32 v4, s5, v4
	s_branch .LBB7_11
.LBB7_10:                               ;   in Loop: Header=BB7_11 Depth=1
	s_or_b32 exec_lo, exec_lo, s11
	v_add_nc_u32_e32 v3, 8, v3
	s_delay_alu instid0(VALU_DEP_1) | instskip(SKIP_1) | instid1(SALU_CYCLE_1)
	v_cmp_le_i32_e64 s0, s1, v3
	s_or_b32 s10, s0, s10
	s_and_not1_b32 exec_lo, exec_lo, s10
	s_cbranch_execz .LBB7_22
.LBB7_11:                               ; =>This Loop Header: Depth=1
                                        ;     Child Loop BB7_14 Depth 2
                                        ;       Child Loop BB7_17 Depth 3
	global_load_b32 v5, v3, s[16:17] scale_offset
	s_mov_b32 s11, exec_lo
	s_wait_loadcnt 0x0
	v_subrev_nc_u32_e32 v6, s4, v5
	s_delay_alu instid0(VALU_DEP_1) | instskip(NEXT) | instid1(VALU_DEP_1)
	v_ashrrev_i32_e32 v7, 31, v6
	v_lshl_add_u64 v[6:7], v[6:7], 2, s[22:23]
	global_load_b64 v[6:7], v[6:7], off
	s_wait_loadcnt 0x0
	v_subrev_nc_u32_e32 v5, s5, v7
	v_add_nc_u32_e32 v6, v6, v4
	s_delay_alu instid0(VALU_DEP_1)
	v_cmpx_lt_i32_e64 v6, v5
	s_cbranch_execz .LBB7_10
; %bb.12:                               ;   in Loop: Header=BB7_11 Depth=1
	s_mov_b32 s24, 0
	s_branch .LBB7_14
.LBB7_13:                               ;   in Loop: Header=BB7_14 Depth=2
	s_or_b32 exec_lo, exec_lo, s25
	v_add_nc_u32_e32 v6, 16, v6
	s_delay_alu instid0(VALU_DEP_1) | instskip(SKIP_1) | instid1(SALU_CYCLE_1)
	v_cmp_ge_i32_e64 s0, v6, v5
	s_or_b32 s24, s0, s24
	s_and_not1_b32 exec_lo, exec_lo, s24
	s_cbranch_execz .LBB7_10
.LBB7_14:                               ;   Parent Loop BB7_11 Depth=1
                                        ; =>  This Loop Header: Depth=2
                                        ;       Child Loop BB7_17 Depth 3
	global_load_b32 v7, v6, s[18:19] scale_offset
	s_mov_b32 s25, 0
                                        ; implicit-def: $sgpr28
	s_wait_loadcnt 0x0
	v_subrev_nc_u32_e32 v7, s5, v7
	s_delay_alu instid0(VALU_DEP_1) | instskip(NEXT) | instid1(VALU_DEP_1)
	v_mul_lo_u32 v8, 0x89, v7
	v_and_b32_e32 v8, 0xff, v8
	s_branch .LBB7_17
.LBB7_15:                               ;   in Loop: Header=BB7_17 Depth=3
	s_or_b32 exec_lo, exec_lo, s30
	s_delay_alu instid0(SALU_CYCLE_1) | instskip(SKIP_1) | instid1(SALU_CYCLE_1)
	s_and_not1_b32 s28, s28, exec_lo
	s_and_b32 s0, s0, exec_lo
	s_or_b32 s28, s28, s0
.LBB7_16:                               ;   in Loop: Header=BB7_17 Depth=3
	s_or_b32 exec_lo, exec_lo, s29
	s_xor_b32 s0, s28, -1
	s_delay_alu instid0(SALU_CYCLE_1) | instskip(NEXT) | instid1(SALU_CYCLE_1)
	s_and_b32 s0, exec_lo, s0
	s_or_b32 s25, s0, s25
	s_delay_alu instid0(SALU_CYCLE_1)
	s_and_not1_b32 exec_lo, exec_lo, s25
	s_cbranch_execz .LBB7_13
.LBB7_17:                               ;   Parent Loop BB7_11 Depth=1
                                        ;     Parent Loop BB7_14 Depth=2
                                        ; =>    This Inner Loop Header: Depth=3
	s_delay_alu instid0(VALU_DEP_1)
	v_lshl_add_u32 v9, v8, 2, 0
	s_and_not1_b32 s28, s28, exec_lo
	s_mov_b32 s29, exec_lo
	ds_load_b32 v10, v9
	s_wait_dscnt 0x0
	v_cmpx_ne_u32_e64 v10, v7
	s_cbranch_execz .LBB7_16
; %bb.18:                               ;   in Loop: Header=BB7_17 Depth=3
	v_cmp_ne_u32_e64 s0, s26, v10
	s_and_saveexec_b32 s30, s0
	s_delay_alu instid0(SALU_CYCLE_1)
	s_xor_b32 s0, exec_lo, s30
; %bb.19:                               ;   in Loop: Header=BB7_17 Depth=3
	v_add_nc_u32_e32 v8, 1, v8
                                        ; implicit-def: $vgpr9
	s_delay_alu instid0(VALU_DEP_1)
	v_and_b32_e32 v8, 0xff, v8
; %bb.20:                               ;   in Loop: Header=BB7_17 Depth=3
	s_or_saveexec_b32 s30, s0
	s_mov_b32 s0, -1
	s_xor_b32 exec_lo, exec_lo, s30
	s_cbranch_execz .LBB7_15
; %bb.21:                               ;   in Loop: Header=BB7_17 Depth=3
	v_mov_b32_e32 v10, s26
	ds_cmpstore_rtn_b32 v9, v9, v7, v10
	s_wait_dscnt 0x0
	v_cmp_ne_u32_e64 s0, s26, v9
	s_or_not1_b32 s0, s0, exec_lo
	s_branch .LBB7_15
.LBB7_22:
	s_or_b32 exec_lo, exec_lo, s9
.LBB7_23:
	s_wait_xcnt 0x0
	s_bfe_u32 s0, s27, 0x10008
	s_delay_alu instid0(SALU_CYCLE_1)
	s_cmp_eq_u32 s0, 0
	s_cbranch_scc1 .LBB7_36
; %bb.24:
	s_wait_kmcnt 0x0
	s_ashr_i32 s9, s8, 31
	v_subrev_nc_u32_e32 v3, s7, v0
	s_lshl_b64 s[0:1], s[8:9], 2
	s_delay_alu instid0(SALU_CYCLE_1)
	s_add_nc_u64 s[0:1], s[20:21], s[0:1]
	s_load_b64 s[4:5], s[0:1], 0x0
	s_wait_kmcnt 0x0
	v_add_nc_u32_e32 v3, s4, v3
	s_sub_co_i32 s1, s5, s7
	s_mov_b32 s4, exec_lo
	s_delay_alu instid0(VALU_DEP_1)
	v_cmpx_gt_i32_e64 s1, v3
	s_cbranch_execz .LBB7_35
; %bb.25:
	s_mov_b32 s5, 0
	s_branch .LBB7_27
.LBB7_26:                               ;   in Loop: Header=BB7_27 Depth=1
	s_or_b32 exec_lo, exec_lo, s9
	v_add_nc_u32_e32 v3, 0x80, v3
	s_delay_alu instid0(VALU_DEP_1) | instskip(SKIP_1) | instid1(SALU_CYCLE_1)
	v_cmp_le_i32_e64 s0, s1, v3
	s_or_b32 s5, s0, s5
	s_and_not1_b32 exec_lo, exec_lo, s5
	s_cbranch_execz .LBB7_35
.LBB7_27:                               ; =>This Loop Header: Depth=1
                                        ;     Child Loop BB7_30 Depth 2
	global_load_b32 v4, v3, s[14:15] scale_offset
	s_mov_b32 s9, 0
                                        ; implicit-def: $sgpr10
	s_wait_loadcnt 0x0
	v_subrev_nc_u32_e32 v4, s7, v4
	s_delay_alu instid0(VALU_DEP_1) | instskip(NEXT) | instid1(VALU_DEP_1)
	v_mul_lo_u32 v5, 0x89, v4
	v_and_b32_e32 v5, 0xff, v5
	s_branch .LBB7_30
.LBB7_28:                               ;   in Loop: Header=BB7_30 Depth=2
	s_or_b32 exec_lo, exec_lo, s16
	s_delay_alu instid0(SALU_CYCLE_1) | instskip(SKIP_1) | instid1(SALU_CYCLE_1)
	s_and_not1_b32 s10, s10, exec_lo
	s_and_b32 s0, s0, exec_lo
	s_or_b32 s10, s10, s0
.LBB7_29:                               ;   in Loop: Header=BB7_30 Depth=2
	s_or_b32 exec_lo, exec_lo, s11
	s_xor_b32 s0, s10, -1
	s_delay_alu instid0(SALU_CYCLE_1) | instskip(NEXT) | instid1(SALU_CYCLE_1)
	s_and_b32 s0, exec_lo, s0
	s_or_b32 s9, s0, s9
	s_delay_alu instid0(SALU_CYCLE_1)
	s_and_not1_b32 exec_lo, exec_lo, s9
	s_cbranch_execz .LBB7_26
.LBB7_30:                               ;   Parent Loop BB7_27 Depth=1
                                        ; =>  This Inner Loop Header: Depth=2
	s_delay_alu instid0(VALU_DEP_1)
	v_lshl_add_u32 v6, v5, 2, 0
	s_and_not1_b32 s10, s10, exec_lo
	s_mov_b32 s11, exec_lo
	ds_load_b32 v7, v6
	s_wait_dscnt 0x0
	v_cmpx_ne_u32_e64 v7, v4
	s_cbranch_execz .LBB7_29
; %bb.31:                               ;   in Loop: Header=BB7_30 Depth=2
	v_cmp_ne_u32_e64 s0, s26, v7
	s_and_saveexec_b32 s16, s0
	s_delay_alu instid0(SALU_CYCLE_1)
	s_xor_b32 s0, exec_lo, s16
; %bb.32:                               ;   in Loop: Header=BB7_30 Depth=2
	v_add_nc_u32_e32 v5, 1, v5
                                        ; implicit-def: $vgpr6
	s_delay_alu instid0(VALU_DEP_1)
	v_and_b32_e32 v5, 0xff, v5
; %bb.33:                               ;   in Loop: Header=BB7_30 Depth=2
	s_or_saveexec_b32 s16, s0
	s_mov_b32 s0, -1
	s_xor_b32 exec_lo, exec_lo, s16
	s_cbranch_execz .LBB7_28
; %bb.34:                               ;   in Loop: Header=BB7_30 Depth=2
	v_mov_b32_e32 v7, s26
	ds_cmpstore_rtn_b32 v6, v6, v4, v7
	s_wait_dscnt 0x0
	v_cmp_ne_u32_e64 s0, s26, v6
	s_or_not1_b32 s0, s0, exec_lo
	s_branch .LBB7_28
.LBB7_35:
	s_or_b32 exec_lo, exec_lo, s4
.LBB7_36:
	s_barrier_signal -1
	s_barrier_wait -1
	s_wait_kmcnt 0x0
	s_and_saveexec_b32 s4, vcc_lo
	s_cbranch_execz .LBB7_45
; %bb.37:
	v_mbcnt_lo_u32_b32 v4, -1, 0
	v_dual_mov_b32 v3, 0 :: v_dual_bitop2_b32 v2, 4, v2 bitop3:0x40
	v_cmp_eq_u32_e64 s0, 0x7f, v0
	s_mov_b32 s5, 0
	v_xor_b32_e32 v6, 31, v4
	v_or_b32_e32 v4, 0xffffff80, v0
	v_add_nc_u32_e32 v5, 0, v2
	v_cmp_lt_u32_e32 vcc_lo, 63, v0
	s_delay_alu instid0(VALU_DEP_4)
	v_lshrrev_b32_e64 v2, v6, -1
	v_mov_b32_e32 v6, 0
	s_branch .LBB7_39
.LBB7_38:                               ;   in Loop: Header=BB7_39 Depth=1
	s_or_b32 exec_lo, exec_lo, s1
	s_wait_dscnt 0x0
	s_barrier_signal -1
	s_barrier_wait -1
	ds_load_b32 v7, v3 offset:1028
	v_add_co_u32 v4, s1, 0x80, v4
	s_xor_b32 s1, s1, -1
	v_add_nc_u32_e32 v1, 0x200, v1
	s_and_b32 s1, exec_lo, s1
	s_delay_alu instid0(SALU_CYCLE_1)
	s_or_b32 s5, s1, s5
	s_wait_dscnt 0x0
	v_add_nc_u32_e32 v6, v7, v6
	s_and_not1_b32 exec_lo, exec_lo, s5
	s_cbranch_execz .LBB7_45
.LBB7_39:                               ; =>This Inner Loop Header: Depth=1
	ds_load_b32 v7, v1
	s_wait_dscnt 0x0
	s_barrier_signal -1
	s_barrier_wait -1
	v_cmp_gt_i32_e64 s1, s26, v7
	s_bcnt1_i32_b32 s7, s1
	s_delay_alu instid0(SALU_CYCLE_1) | instskip(NEXT) | instid1(VALU_DEP_1)
	v_dual_mov_b32 v9, s7 :: v_dual_bitop2_b32 v8, s1, v2 bitop3:0x40
	v_bcnt_u32_b32 v8, v8, 0
	ds_store_b32 v5, v9 offset:1024
	s_wait_dscnt 0x0
	s_barrier_signal -1
	s_barrier_wait -1
	s_and_saveexec_b32 s7, vcc_lo
	s_cbranch_execnz .LBB7_42
; %bb.40:                               ;   in Loop: Header=BB7_39 Depth=1
	s_or_b32 exec_lo, exec_lo, s7
	s_and_saveexec_b32 s7, s1
	s_cbranch_execnz .LBB7_43
.LBB7_41:                               ;   in Loop: Header=BB7_39 Depth=1
	s_or_b32 exec_lo, exec_lo, s7
	s_and_saveexec_b32 s1, s0
	s_cbranch_execz .LBB7_38
	s_branch .LBB7_44
.LBB7_42:                               ;   in Loop: Header=BB7_39 Depth=1
	ds_load_b32 v9, v3 offset:1024
	s_wait_dscnt 0x0
	v_add_nc_u32_e32 v8, v9, v8
	s_or_b32 exec_lo, exec_lo, s7
	s_and_saveexec_b32 s7, s1
	s_cbranch_execz .LBB7_41
.LBB7_43:                               ;   in Loop: Header=BB7_39 Depth=1
	s_delay_alu instid0(VALU_DEP_1) | instskip(NEXT) | instid1(VALU_DEP_1)
	v_dual_lshlrev_b32 v9, 2, v6 :: v_dual_lshlrev_b32 v10, 2, v8
	v_add_nc_u32_e32 v9, 0, v9
	s_delay_alu instid0(VALU_DEP_1)
	v_add3_u32 v9, v9, v10, -4
	ds_store_b32 v9, v7
	s_or_b32 exec_lo, exec_lo, s7
	s_and_saveexec_b32 s1, s0
	s_cbranch_execz .LBB7_38
.LBB7_44:                               ;   in Loop: Header=BB7_39 Depth=1
	ds_store_b32 v3, v8 offset:1028
	s_branch .LBB7_38
.LBB7_45:
	s_or_b32 exec_lo, exec_lo, s4
	s_ashr_i32 s9, s8, 31
	s_delay_alu instid0(SALU_CYCLE_1) | instskip(NEXT) | instid1(SALU_CYCLE_1)
	s_lshl_b64 s[0:1], s[8:9], 2
	s_add_nc_u64 s[4:5], s[12:13], s[0:1]
	s_load_b64 s[0:1], s[4:5], 0x0
	s_wait_kmcnt 0x0
	s_sub_co_i32 s7, s1, s0
	s_mov_b32 s1, exec_lo
	v_cmpx_gt_i32_e64 s7, v0
	s_cbranch_execz .LBB7_59
; %bb.46:
	v_sub_co_u32 v1, s1, s7, 2
	s_sub_co_i32 s4, s0, s6
	s_xor_b32 s9, s1, -1
	s_and_b32 s8, s7, -2
	v_readfirstlane_b32 s5, v1
	s_lshr_b32 s0, s5, 1
	s_mov_b32 s5, 0
	s_add_co_i32 s0, s0, 1
	s_mov_b32 s14, s5
	s_and_b32 s1, s0, 7
	s_and_b32 s10, s0, -8
	s_cmp_lg_u32 s1, 0
	v_cmp_lt_u32_e64 s0, 13, v1
	s_cselect_b32 s11, -1, 0
	s_cmp_lg_u32 s7, s8
	s_cselect_b32 s12, -1, 0
	s_lshl_b32 s13, s1, 3
	s_branch .LBB7_48
.LBB7_47:                               ;   in Loop: Header=BB7_48 Depth=1
	v_add_nc_u32_e32 v0, 0x80, v0
	s_wait_dscnt 0x0
	v_add_nc_u32_e32 v1, s6, v1
	s_delay_alu instid0(VALU_DEP_2)
	v_cmp_le_i32_e32 vcc_lo, s7, v0
	global_store_b32 v2, v1, s[2:3] scale_offset
	s_or_b32 s14, vcc_lo, s14
	s_wait_xcnt 0x0
	s_and_not1_b32 exec_lo, exec_lo, s14
	s_cbranch_execz .LBB7_59
.LBB7_48:                               ; =>This Loop Header: Depth=1
                                        ;     Child Loop BB7_51 Depth 2
                                        ;     Child Loop BB7_54 Depth 2
	;; [unrolled: 1-line block ×3, first 2 shown]
	v_lshl_add_u32 v1, v0, 2, 0
	v_mov_b32_e32 v2, s4
	s_and_not1_b32 vcc_lo, exec_lo, s9
	s_mov_b32 s1, 0
	s_mov_b32 s15, -1
	ds_load_b32 v1, v1
	s_cbranch_vccnz .LBB7_56
; %bb.49:                               ;   in Loop: Header=BB7_48 Depth=1
	v_mov_b64_e32 v[2:3], s[4:5]
	s_and_not1_b32 vcc_lo, exec_lo, s0
	s_mov_b32 s15, 0
	s_cbranch_vccnz .LBB7_52
; %bb.50:                               ;   in Loop: Header=BB7_48 Depth=1
	v_dual_mov_b32 v2, s4 :: v_dual_mov_b32 v3, 0
	s_mov_b32 s16, 0
	s_mov_b32 s17, s10
.LBB7_51:                               ;   Parent Loop BB7_48 Depth=1
                                        ; =>  This Inner Loop Header: Depth=2
	v_mov_b32_e32 v18, s16
	s_add_co_i32 s17, s17, -8
	s_add_co_i32 s15, s15, 16
	s_add_co_i32 s16, s16, 64
	s_cmp_lg_u32 s17, 0
	ds_load_2addr_b32 v[4:5], v18 offset1:1
	ds_load_2addr_b32 v[6:7], v18 offset0:2 offset1:3
	ds_load_2addr_b32 v[8:9], v18 offset0:4 offset1:5
	;; [unrolled: 1-line block ×7, first 2 shown]
	s_wait_dscnt 0x7
	v_cmp_gt_i32_e32 vcc_lo, v1, v5
	s_wait_dscnt 0x5
	v_cmp_gt_i32_e64 s1, v1, v8
	v_cndmask_b32_e64 v5, 0, 1, vcc_lo
	v_cmp_gt_i32_e32 vcc_lo, v1, v4
	v_cndmask_b32_e64 v4, 0, 1, vcc_lo
	v_cmp_gt_i32_e32 vcc_lo, v1, v6
	v_cndmask_b32_e64 v6, 0, 1, s1
	v_cmp_gt_i32_e64 s1, v1, v9
	s_delay_alu instid0(VALU_DEP_4) | instskip(NEXT) | instid1(VALU_DEP_2)
	v_add_co_ci_u32_e64 v2, null, v2, v4, vcc_lo
	v_cndmask_b32_e64 v8, 0, 1, s1
	s_wait_dscnt 0x4
	v_cmp_gt_i32_e64 s1, v1, v11
	s_wait_dscnt 0x2
	v_cmp_gt_i32_e32 vcc_lo, v1, v14
	s_delay_alu instid0(VALU_DEP_2) | instskip(SKIP_4) | instid1(VALU_DEP_3)
	v_cndmask_b32_e64 v9, 0, 1, s1
	v_cmp_gt_i32_e64 s1, v1, v10
	v_add_co_ci_u32_e64 v2, null, v2, v6, vcc_lo
	s_wait_dscnt 0x1
	v_cmp_gt_i32_e32 vcc_lo, v1, v16
	v_cndmask_b32_e64 v10, 0, 1, s1
	v_cmp_gt_i32_e64 s1, v1, v12
	s_delay_alu instid0(VALU_DEP_2) | instskip(NEXT) | instid1(VALU_DEP_2)
	v_add_co_ci_u32_e64 v2, null, v2, v10, vcc_lo
	v_cndmask_b32_e64 v11, 0, 1, s1
	v_cmp_gt_i32_e64 s1, v1, v13
	s_wait_dscnt 0x0
	v_cmp_gt_i32_e32 vcc_lo, v1, v18
	s_delay_alu instid0(VALU_DEP_2) | instskip(SKIP_2) | instid1(VALU_DEP_2)
	v_cndmask_b32_e64 v12, 0, 1, s1
	v_cmp_gt_i32_e64 s1, v1, v7
	v_add_co_ci_u32_e64 v2, null, v2, v11, vcc_lo
	v_add_co_ci_u32_e64 v3, null, v3, v5, s1
	v_cmp_gt_i32_e64 s1, v1, v15
	s_delay_alu instid0(VALU_DEP_1) | instskip(SKIP_1) | instid1(VALU_DEP_1)
	v_add_co_ci_u32_e64 v3, null, v3, v8, s1
	v_cmp_gt_i32_e64 s1, v1, v17
	v_add_co_ci_u32_e64 v3, null, v3, v9, s1
	v_cmp_gt_i32_e64 s1, v1, v19
	s_delay_alu instid0(VALU_DEP_1)
	v_add_co_ci_u32_e64 v3, null, v3, v12, s1
	s_cbranch_scc1 .LBB7_51
.LBB7_52:                               ;   in Loop: Header=BB7_48 Depth=1
	s_and_not1_b32 vcc_lo, exec_lo, s11
	s_cbranch_vccnz .LBB7_55
; %bb.53:                               ;   in Loop: Header=BB7_48 Depth=1
	s_lshl_b32 s1, s15, 2
	s_mov_b32 s15, s13
	s_add_co_i32 s1, s1, 0
.LBB7_54:                               ;   Parent Loop BB7_48 Depth=1
                                        ; =>  This Inner Loop Header: Depth=2
	s_delay_alu instid0(SALU_CYCLE_1)
	v_mov_b32_e32 v4, s1
	s_add_co_i32 s15, s15, -8
	s_add_co_i32 s1, s1, 8
	s_cmp_lg_u32 s15, 0
	ds_load_2addr_b32 v[4:5], v4 offset1:1
	s_wait_dscnt 0x0
	v_cmp_gt_i32_e32 vcc_lo, v1, v5
	v_add_co_ci_u32_e64 v3, null, 0, v3, vcc_lo
	v_cmp_gt_i32_e32 vcc_lo, v1, v4
	v_add_co_ci_u32_e64 v2, null, 0, v2, vcc_lo
	s_cbranch_scc1 .LBB7_54
.LBB7_55:                               ;   in Loop: Header=BB7_48 Depth=1
	s_delay_alu instid0(VALU_DEP_1)
	v_add_nc_u32_e32 v2, v2, v3
	s_mov_b32 s1, s8
	s_mov_b32 s15, s12
.LBB7_56:                               ;   in Loop: Header=BB7_48 Depth=1
	s_delay_alu instid0(SALU_CYCLE_1)
	s_and_b32 vcc_lo, exec_lo, s15
	s_cbranch_vccz .LBB7_47
; %bb.57:                               ;   in Loop: Header=BB7_48 Depth=1
	s_lshl_b32 s15, s1, 2
	s_delay_alu instid0(SALU_CYCLE_1)
	s_add_co_i32 s15, s15, 0
.LBB7_58:                               ;   Parent Loop BB7_48 Depth=1
                                        ; =>  This Inner Loop Header: Depth=2
	s_delay_alu instid0(SALU_CYCLE_1)
	v_mov_b32_e32 v3, s15
	s_add_co_i32 s1, s1, 1
	s_add_co_i32 s15, s15, 4
	s_cmp_ge_i32 s1, s7
	ds_load_b32 v3, v3
	s_wait_dscnt 0x0
	v_cmp_gt_i32_e32 vcc_lo, v1, v3
	v_add_co_ci_u32_e64 v2, null, 0, v2, vcc_lo
	s_cbranch_scc0 .LBB7_58
	s_branch .LBB7_47
.LBB7_59:
	s_endpgm
	.section	.rodata,"a",@progbits
	.p2align	6, 0x0
	.amdhsa_kernel _ZN9rocsparseL35csrgemm_symbolic_fill_block_per_rowILj128ELj16ELj256ELj137ELj64EiiEEvT5_PKS1_S3_PKT4_S3_S6_S3_S6_S3_S6_PS1_21rocsparse_index_base_S8_S8_S8_bb
		.amdhsa_group_segment_fixed_size 0
		.amdhsa_private_segment_fixed_size 0
		.amdhsa_kernarg_size 108
		.amdhsa_user_sgpr_count 2
		.amdhsa_user_sgpr_dispatch_ptr 0
		.amdhsa_user_sgpr_queue_ptr 0
		.amdhsa_user_sgpr_kernarg_segment_ptr 1
		.amdhsa_user_sgpr_dispatch_id 0
		.amdhsa_user_sgpr_kernarg_preload_length 0
		.amdhsa_user_sgpr_kernarg_preload_offset 0
		.amdhsa_user_sgpr_private_segment_size 0
		.amdhsa_wavefront_size32 1
		.amdhsa_uses_dynamic_stack 0
		.amdhsa_enable_private_segment 0
		.amdhsa_system_sgpr_workgroup_id_x 1
		.amdhsa_system_sgpr_workgroup_id_y 0
		.amdhsa_system_sgpr_workgroup_id_z 0
		.amdhsa_system_sgpr_workgroup_info 0
		.amdhsa_system_vgpr_workitem_id 0
		.amdhsa_next_free_vgpr 20
		.amdhsa_next_free_sgpr 31
		.amdhsa_named_barrier_count 0
		.amdhsa_reserve_vcc 1
		.amdhsa_float_round_mode_32 0
		.amdhsa_float_round_mode_16_64 0
		.amdhsa_float_denorm_mode_32 3
		.amdhsa_float_denorm_mode_16_64 3
		.amdhsa_fp16_overflow 0
		.amdhsa_memory_ordered 1
		.amdhsa_forward_progress 1
		.amdhsa_inst_pref_size 19
		.amdhsa_round_robin_scheduling 0
		.amdhsa_exception_fp_ieee_invalid_op 0
		.amdhsa_exception_fp_denorm_src 0
		.amdhsa_exception_fp_ieee_div_zero 0
		.amdhsa_exception_fp_ieee_overflow 0
		.amdhsa_exception_fp_ieee_underflow 0
		.amdhsa_exception_fp_ieee_inexact 0
		.amdhsa_exception_int_div_zero 0
	.end_amdhsa_kernel
	.section	.text._ZN9rocsparseL35csrgemm_symbolic_fill_block_per_rowILj128ELj16ELj256ELj137ELj64EiiEEvT5_PKS1_S3_PKT4_S3_S6_S3_S6_S3_S6_PS1_21rocsparse_index_base_S8_S8_S8_bb,"axG",@progbits,_ZN9rocsparseL35csrgemm_symbolic_fill_block_per_rowILj128ELj16ELj256ELj137ELj64EiiEEvT5_PKS1_S3_PKT4_S3_S6_S3_S6_S3_S6_PS1_21rocsparse_index_base_S8_S8_S8_bb,comdat
.Lfunc_end7:
	.size	_ZN9rocsparseL35csrgemm_symbolic_fill_block_per_rowILj128ELj16ELj256ELj137ELj64EiiEEvT5_PKS1_S3_PKT4_S3_S6_S3_S6_S3_S6_PS1_21rocsparse_index_base_S8_S8_S8_bb, .Lfunc_end7-_ZN9rocsparseL35csrgemm_symbolic_fill_block_per_rowILj128ELj16ELj256ELj137ELj64EiiEEvT5_PKS1_S3_PKT4_S3_S6_S3_S6_S3_S6_PS1_21rocsparse_index_base_S8_S8_S8_bb
                                        ; -- End function
	.set _ZN9rocsparseL35csrgemm_symbolic_fill_block_per_rowILj128ELj16ELj256ELj137ELj64EiiEEvT5_PKS1_S3_PKT4_S3_S6_S3_S6_S3_S6_PS1_21rocsparse_index_base_S8_S8_S8_bb.num_vgpr, 20
	.set _ZN9rocsparseL35csrgemm_symbolic_fill_block_per_rowILj128ELj16ELj256ELj137ELj64EiiEEvT5_PKS1_S3_PKT4_S3_S6_S3_S6_S3_S6_PS1_21rocsparse_index_base_S8_S8_S8_bb.num_agpr, 0
	.set _ZN9rocsparseL35csrgemm_symbolic_fill_block_per_rowILj128ELj16ELj256ELj137ELj64EiiEEvT5_PKS1_S3_PKT4_S3_S6_S3_S6_S3_S6_PS1_21rocsparse_index_base_S8_S8_S8_bb.numbered_sgpr, 31
	.set _ZN9rocsparseL35csrgemm_symbolic_fill_block_per_rowILj128ELj16ELj256ELj137ELj64EiiEEvT5_PKS1_S3_PKT4_S3_S6_S3_S6_S3_S6_PS1_21rocsparse_index_base_S8_S8_S8_bb.num_named_barrier, 0
	.set _ZN9rocsparseL35csrgemm_symbolic_fill_block_per_rowILj128ELj16ELj256ELj137ELj64EiiEEvT5_PKS1_S3_PKT4_S3_S6_S3_S6_S3_S6_PS1_21rocsparse_index_base_S8_S8_S8_bb.private_seg_size, 0
	.set _ZN9rocsparseL35csrgemm_symbolic_fill_block_per_rowILj128ELj16ELj256ELj137ELj64EiiEEvT5_PKS1_S3_PKT4_S3_S6_S3_S6_S3_S6_PS1_21rocsparse_index_base_S8_S8_S8_bb.uses_vcc, 1
	.set _ZN9rocsparseL35csrgemm_symbolic_fill_block_per_rowILj128ELj16ELj256ELj137ELj64EiiEEvT5_PKS1_S3_PKT4_S3_S6_S3_S6_S3_S6_PS1_21rocsparse_index_base_S8_S8_S8_bb.uses_flat_scratch, 0
	.set _ZN9rocsparseL35csrgemm_symbolic_fill_block_per_rowILj128ELj16ELj256ELj137ELj64EiiEEvT5_PKS1_S3_PKT4_S3_S6_S3_S6_S3_S6_PS1_21rocsparse_index_base_S8_S8_S8_bb.has_dyn_sized_stack, 0
	.set _ZN9rocsparseL35csrgemm_symbolic_fill_block_per_rowILj128ELj16ELj256ELj137ELj64EiiEEvT5_PKS1_S3_PKT4_S3_S6_S3_S6_S3_S6_PS1_21rocsparse_index_base_S8_S8_S8_bb.has_recursion, 0
	.set _ZN9rocsparseL35csrgemm_symbolic_fill_block_per_rowILj128ELj16ELj256ELj137ELj64EiiEEvT5_PKS1_S3_PKT4_S3_S6_S3_S6_S3_S6_PS1_21rocsparse_index_base_S8_S8_S8_bb.has_indirect_call, 0
	.section	.AMDGPU.csdata,"",@progbits
; Kernel info:
; codeLenInByte = 2380
; TotalNumSgprs: 33
; NumVgprs: 20
; ScratchSize: 0
; MemoryBound: 0
; FloatMode: 240
; IeeeMode: 1
; LDSByteSize: 0 bytes/workgroup (compile time only)
; SGPRBlocks: 0
; VGPRBlocks: 1
; NumSGPRsForWavesPerEU: 33
; NumVGPRsForWavesPerEU: 20
; NamedBarCnt: 0
; Occupancy: 16
; WaveLimiterHint : 1
; COMPUTE_PGM_RSRC2:SCRATCH_EN: 0
; COMPUTE_PGM_RSRC2:USER_SGPR: 2
; COMPUTE_PGM_RSRC2:TRAP_HANDLER: 0
; COMPUTE_PGM_RSRC2:TGID_X_EN: 1
; COMPUTE_PGM_RSRC2:TGID_Y_EN: 0
; COMPUTE_PGM_RSRC2:TGID_Z_EN: 0
; COMPUTE_PGM_RSRC2:TIDIG_COMP_CNT: 0
	.section	.text._ZN9rocsparseL35csrgemm_symbolic_fill_block_per_rowILj256ELj32ELj512ELj137ELj32EiiEEvT5_PKS1_S3_PKT4_S3_S6_S3_S6_S3_S6_PS1_21rocsparse_index_base_S8_S8_S8_bb,"axG",@progbits,_ZN9rocsparseL35csrgemm_symbolic_fill_block_per_rowILj256ELj32ELj512ELj137ELj32EiiEEvT5_PKS1_S3_PKT4_S3_S6_S3_S6_S3_S6_PS1_21rocsparse_index_base_S8_S8_S8_bb,comdat
	.globl	_ZN9rocsparseL35csrgemm_symbolic_fill_block_per_rowILj256ELj32ELj512ELj137ELj32EiiEEvT5_PKS1_S3_PKT4_S3_S6_S3_S6_S3_S6_PS1_21rocsparse_index_base_S8_S8_S8_bb ; -- Begin function _ZN9rocsparseL35csrgemm_symbolic_fill_block_per_rowILj256ELj32ELj512ELj137ELj32EiiEEvT5_PKS1_S3_PKT4_S3_S6_S3_S6_S3_S6_PS1_21rocsparse_index_base_S8_S8_S8_bb
	.p2align	8
	.type	_ZN9rocsparseL35csrgemm_symbolic_fill_block_per_rowILj256ELj32ELj512ELj137ELj32EiiEEvT5_PKS1_S3_PKT4_S3_S6_S3_S6_S3_S6_PS1_21rocsparse_index_base_S8_S8_S8_bb,@function
_ZN9rocsparseL35csrgemm_symbolic_fill_block_per_rowILj256ELj32ELj512ELj137ELj32EiiEEvT5_PKS1_S3_PKT4_S3_S6_S3_S6_S3_S6_PS1_21rocsparse_index_base_S8_S8_S8_bb: ; @_ZN9rocsparseL35csrgemm_symbolic_fill_block_per_rowILj256ELj32ELj512ELj137ELj32EiiEEvT5_PKS1_S3_PKT4_S3_S6_S3_S6_S3_S6_PS1_21rocsparse_index_base_S8_S8_S8_bb
; %bb.0:
	s_clause 0x5
	s_load_b32 s28, s[0:1], 0x0
	s_load_b128 s[4:7], s[0:1], 0x8
	s_load_b64 s[12:13], s[0:1], 0x50
	s_load_b64 s[2:3], s[0:1], 0x40
	;; [unrolled: 1-line block ×4, first 2 shown]
	v_cmp_gt_u32_e32 vcc_lo, 0x200, v0
	v_lshl_add_u32 v1, v0, 2, 0
	s_and_saveexec_b32 s10, vcc_lo
	s_cbranch_execz .LBB8_7
; %bb.1:
	v_lshl_add_u32 v2, v0, 2, 0
	s_mov_b32 s11, 0
	s_mov_b32 s8, 0
	s_branch .LBB8_3
.LBB8_2:                                ;   in Loop: Header=BB8_3 Depth=1
	s_or_b32 exec_lo, exec_lo, s14
	s_add_co_i32 s8, s8, 2
	v_add_nc_u32_e32 v2, 0x800, v2
	v_cmp_eq_u32_e64 s9, 2, s8
	s_or_b32 s11, s9, s11
	s_delay_alu instid0(SALU_CYCLE_1)
	s_and_not1_b32 exec_lo, exec_lo, s11
	s_cbranch_execz .LBB8_7
.LBB8_3:                                ; =>This Inner Loop Header: Depth=1
	s_mov_b32 s9, s8
	s_delay_alu instid0(SALU_CYCLE_1) | instskip(NEXT) | instid1(SALU_CYCLE_1)
	s_or_b64 s[14:15], s[8:9], 0x100000000
	v_cmp_le_u32_e64 s9, s15, 1
	v_cmp_le_u32_e64 s15, s14, 1
	s_and_saveexec_b32 s14, s15
	s_cbranch_execz .LBB8_5
; %bb.4:                                ;   in Loop: Header=BB8_3 Depth=1
	s_wait_kmcnt 0x0
	v_mov_b32_e32 v3, s28
	ds_store_b32 v2, v3
.LBB8_5:                                ;   in Loop: Header=BB8_3 Depth=1
	s_or_b32 exec_lo, exec_lo, s14
	s_and_saveexec_b32 s14, s9
	s_cbranch_execz .LBB8_2
; %bb.6:                                ;   in Loop: Header=BB8_3 Depth=1
	s_wait_kmcnt 0x0
	v_mov_b32_e32 v3, s28
	ds_store_b32 v2, v3 offset:1024
	s_branch .LBB8_2
.LBB8_7:
	s_or_b32 exec_lo, exec_lo, s10
	s_clause 0x3
	s_load_b64 s[14:15], s[0:1], 0x48
	s_load_b64 s[26:27], s[0:1], 0x18
	;; [unrolled: 1-line block ×4, first 2 shown]
	s_wait_dscnt 0x0
	s_barrier_signal -1
	s_barrier_wait -1
	s_wait_kmcnt 0x0
	s_load_b32 s5, s[4:5], 0x0
	s_wait_xcnt 0x0
	s_bfe_u32 s4, ttmp6, 0x4000c
	s_and_b32 s8, ttmp6, 15
	s_add_co_i32 s4, s4, 1
	s_getreg_b32 s9, hwreg(HW_REG_IB_STS2, 6, 4)
	s_mul_i32 s4, ttmp9, s4
	v_lshrrev_b32_e32 v2, 5, v0
	s_add_co_i32 s8, s8, s4
	s_cmp_eq_u32 s9, 0
	s_load_b32 s4, s[0:1], 0x68
	s_cselect_b32 s8, ttmp9, s8
	s_wait_kmcnt 0x0
	s_add_co_i32 s5, s5, s8
	s_load_b128 s[8:11], s[0:1], 0x58
	s_load_b32 s16, s[6:7], s5 offset:0x0 scale_offset
	s_bitcmp0_b32 s4, 0
	s_cbranch_scc1 .LBB8_23
; %bb.8:
	s_wait_kmcnt 0x0
	s_ashr_i32 s17, s16, 31
	v_subrev_nc_u32_e32 v3, s8, v2
	s_lshl_b64 s[0:1], s[16:17], 2
	s_mov_b32 s5, exec_lo
	s_add_nc_u64 s[0:1], s[26:27], s[0:1]
	s_load_b64 s[6:7], s[0:1], 0x0
	s_wait_kmcnt 0x0
	v_add_nc_u32_e32 v3, s6, v3
	s_sub_co_i32 s1, s7, s8
	s_delay_alu instid0(VALU_DEP_1) | instid1(SALU_CYCLE_1)
	v_cmpx_gt_i32_e64 s1, v3
	s_cbranch_execz .LBB8_22
; %bb.9:
	v_and_b32_e32 v4, 31, v0
	s_mov_b32 s6, 0
	s_delay_alu instid0(VALU_DEP_1)
	v_subrev_nc_u32_e32 v4, s9, v4
	s_branch .LBB8_11
.LBB8_10:                               ;   in Loop: Header=BB8_11 Depth=1
	s_or_b32 exec_lo, exec_lo, s7
	v_add_nc_u32_e32 v3, 8, v3
	s_delay_alu instid0(VALU_DEP_1) | instskip(SKIP_1) | instid1(SALU_CYCLE_1)
	v_cmp_le_i32_e64 s0, s1, v3
	s_or_b32 s6, s0, s6
	s_and_not1_b32 exec_lo, exec_lo, s6
	s_cbranch_execz .LBB8_22
.LBB8_11:                               ; =>This Loop Header: Depth=1
                                        ;     Child Loop BB8_14 Depth 2
                                        ;       Child Loop BB8_17 Depth 3
	global_load_b32 v5, v3, s[18:19] scale_offset
	s_mov_b32 s7, exec_lo
	s_wait_loadcnt 0x0
	v_subrev_nc_u32_e32 v6, s8, v5
	s_delay_alu instid0(VALU_DEP_1) | instskip(NEXT) | instid1(VALU_DEP_1)
	v_ashrrev_i32_e32 v7, 31, v6
	v_lshl_add_u64 v[6:7], v[6:7], 2, s[24:25]
	global_load_b64 v[6:7], v[6:7], off
	s_wait_loadcnt 0x0
	v_subrev_nc_u32_e32 v5, s9, v7
	v_add_nc_u32_e32 v6, v6, v4
	s_delay_alu instid0(VALU_DEP_1)
	v_cmpx_lt_i32_e64 v6, v5
	s_cbranch_execz .LBB8_10
; %bb.12:                               ;   in Loop: Header=BB8_11 Depth=1
	s_mov_b32 s17, 0
	s_branch .LBB8_14
.LBB8_13:                               ;   in Loop: Header=BB8_14 Depth=2
	s_or_b32 exec_lo, exec_lo, s26
	v_add_nc_u32_e32 v6, 32, v6
	s_delay_alu instid0(VALU_DEP_1) | instskip(SKIP_1) | instid1(SALU_CYCLE_1)
	v_cmp_ge_i32_e64 s0, v6, v5
	s_or_b32 s17, s0, s17
	s_and_not1_b32 exec_lo, exec_lo, s17
	s_cbranch_execz .LBB8_10
.LBB8_14:                               ;   Parent Loop BB8_11 Depth=1
                                        ; =>  This Loop Header: Depth=2
                                        ;       Child Loop BB8_17 Depth 3
	global_load_b32 v7, v6, s[20:21] scale_offset
	s_mov_b32 s26, 0
                                        ; implicit-def: $sgpr27
	s_wait_loadcnt 0x0
	v_subrev_nc_u32_e32 v7, s9, v7
	s_delay_alu instid0(VALU_DEP_1) | instskip(NEXT) | instid1(VALU_DEP_1)
	v_mul_lo_u32 v8, 0x89, v7
	v_and_b32_e32 v8, 0x1ff, v8
	s_branch .LBB8_17
.LBB8_15:                               ;   in Loop: Header=BB8_17 Depth=3
	s_or_b32 exec_lo, exec_lo, s30
	s_delay_alu instid0(SALU_CYCLE_1) | instskip(SKIP_1) | instid1(SALU_CYCLE_1)
	s_and_not1_b32 s27, s27, exec_lo
	s_and_b32 s0, s0, exec_lo
	s_or_b32 s27, s27, s0
.LBB8_16:                               ;   in Loop: Header=BB8_17 Depth=3
	s_or_b32 exec_lo, exec_lo, s29
	s_xor_b32 s0, s27, -1
	s_delay_alu instid0(SALU_CYCLE_1) | instskip(NEXT) | instid1(SALU_CYCLE_1)
	s_and_b32 s0, exec_lo, s0
	s_or_b32 s26, s0, s26
	s_delay_alu instid0(SALU_CYCLE_1)
	s_and_not1_b32 exec_lo, exec_lo, s26
	s_cbranch_execz .LBB8_13
.LBB8_17:                               ;   Parent Loop BB8_11 Depth=1
                                        ;     Parent Loop BB8_14 Depth=2
                                        ; =>    This Inner Loop Header: Depth=3
	s_delay_alu instid0(VALU_DEP_1)
	v_lshl_add_u32 v9, v8, 2, 0
	s_and_not1_b32 s27, s27, exec_lo
	s_mov_b32 s29, exec_lo
	ds_load_b32 v10, v9
	s_wait_dscnt 0x0
	v_cmpx_ne_u32_e64 v10, v7
	s_cbranch_execz .LBB8_16
; %bb.18:                               ;   in Loop: Header=BB8_17 Depth=3
	v_cmp_ne_u32_e64 s0, s28, v10
	s_and_saveexec_b32 s30, s0
	s_delay_alu instid0(SALU_CYCLE_1)
	s_xor_b32 s0, exec_lo, s30
; %bb.19:                               ;   in Loop: Header=BB8_17 Depth=3
	v_add_nc_u32_e32 v8, 1, v8
                                        ; implicit-def: $vgpr9
	s_delay_alu instid0(VALU_DEP_1)
	v_and_b32_e32 v8, 0x1ff, v8
; %bb.20:                               ;   in Loop: Header=BB8_17 Depth=3
	s_or_saveexec_b32 s30, s0
	s_mov_b32 s0, -1
	s_xor_b32 exec_lo, exec_lo, s30
	s_cbranch_execz .LBB8_15
; %bb.21:                               ;   in Loop: Header=BB8_17 Depth=3
	v_mov_b32_e32 v10, s28
	ds_cmpstore_rtn_b32 v9, v9, v7, v10
	s_wait_dscnt 0x0
	v_cmp_ne_u32_e64 s0, s28, v9
	s_or_not1_b32 s0, s0, exec_lo
	s_branch .LBB8_15
.LBB8_22:
	s_or_b32 exec_lo, exec_lo, s5
.LBB8_23:
	s_wait_xcnt 0x0
	s_bfe_u32 s0, s4, 0x10008
	s_delay_alu instid0(SALU_CYCLE_1)
	s_cmp_eq_u32 s0, 0
	s_cbranch_scc1 .LBB8_36
; %bb.24:
	s_wait_kmcnt 0x0
	s_ashr_i32 s17, s16, 31
	v_subrev_nc_u32_e32 v3, s11, v0
	s_lshl_b64 s[0:1], s[16:17], 2
	s_delay_alu instid0(SALU_CYCLE_1)
	s_add_nc_u64 s[0:1], s[22:23], s[0:1]
	s_load_b64 s[4:5], s[0:1], 0x0
	s_wait_kmcnt 0x0
	v_add_nc_u32_e32 v3, s4, v3
	s_sub_co_i32 s1, s5, s11
	s_mov_b32 s4, exec_lo
	s_delay_alu instid0(VALU_DEP_1)
	v_cmpx_gt_i32_e64 s1, v3
	s_cbranch_execz .LBB8_35
; %bb.25:
	s_mov_b32 s5, 0
	s_branch .LBB8_27
.LBB8_26:                               ;   in Loop: Header=BB8_27 Depth=1
	s_or_b32 exec_lo, exec_lo, s6
	v_add_nc_u32_e32 v3, 0x100, v3
	s_delay_alu instid0(VALU_DEP_1) | instskip(SKIP_1) | instid1(SALU_CYCLE_1)
	v_cmp_le_i32_e64 s0, s1, v3
	s_or_b32 s5, s0, s5
	s_and_not1_b32 exec_lo, exec_lo, s5
	s_cbranch_execz .LBB8_35
.LBB8_27:                               ; =>This Loop Header: Depth=1
                                        ;     Child Loop BB8_30 Depth 2
	global_load_b32 v4, v3, s[2:3] scale_offset
	s_mov_b32 s6, 0
                                        ; implicit-def: $sgpr7
	s_wait_loadcnt 0x0
	v_subrev_nc_u32_e32 v4, s11, v4
	s_delay_alu instid0(VALU_DEP_1) | instskip(NEXT) | instid1(VALU_DEP_1)
	v_mul_lo_u32 v5, 0x89, v4
	v_and_b32_e32 v5, 0x1ff, v5
	s_branch .LBB8_30
.LBB8_28:                               ;   in Loop: Header=BB8_30 Depth=2
	s_or_b32 exec_lo, exec_lo, s9
	s_delay_alu instid0(SALU_CYCLE_1) | instskip(SKIP_1) | instid1(SALU_CYCLE_1)
	s_and_not1_b32 s7, s7, exec_lo
	s_and_b32 s0, s0, exec_lo
	s_or_b32 s7, s7, s0
.LBB8_29:                               ;   in Loop: Header=BB8_30 Depth=2
	s_or_b32 exec_lo, exec_lo, s8
	s_xor_b32 s0, s7, -1
	s_delay_alu instid0(SALU_CYCLE_1) | instskip(NEXT) | instid1(SALU_CYCLE_1)
	s_and_b32 s0, exec_lo, s0
	s_or_b32 s6, s0, s6
	s_delay_alu instid0(SALU_CYCLE_1)
	s_and_not1_b32 exec_lo, exec_lo, s6
	s_cbranch_execz .LBB8_26
.LBB8_30:                               ;   Parent Loop BB8_27 Depth=1
                                        ; =>  This Inner Loop Header: Depth=2
	s_delay_alu instid0(VALU_DEP_1)
	v_lshl_add_u32 v6, v5, 2, 0
	s_and_not1_b32 s7, s7, exec_lo
	s_mov_b32 s8, exec_lo
	ds_load_b32 v7, v6
	s_wait_dscnt 0x0
	v_cmpx_ne_u32_e64 v7, v4
	s_cbranch_execz .LBB8_29
; %bb.31:                               ;   in Loop: Header=BB8_30 Depth=2
	v_cmp_ne_u32_e64 s0, s28, v7
	s_and_saveexec_b32 s9, s0
	s_delay_alu instid0(SALU_CYCLE_1)
	s_xor_b32 s0, exec_lo, s9
; %bb.32:                               ;   in Loop: Header=BB8_30 Depth=2
	v_add_nc_u32_e32 v5, 1, v5
                                        ; implicit-def: $vgpr6
	s_delay_alu instid0(VALU_DEP_1)
	v_and_b32_e32 v5, 0x1ff, v5
; %bb.33:                               ;   in Loop: Header=BB8_30 Depth=2
	s_or_saveexec_b32 s9, s0
	s_mov_b32 s0, -1
	s_xor_b32 exec_lo, exec_lo, s9
	s_cbranch_execz .LBB8_28
; %bb.34:                               ;   in Loop: Header=BB8_30 Depth=2
	v_mov_b32_e32 v7, s28
	ds_cmpstore_rtn_b32 v6, v6, v4, v7
	s_wait_dscnt 0x0
	v_cmp_ne_u32_e64 s0, s28, v6
	s_or_not1_b32 s0, s0, exec_lo
	s_branch .LBB8_28
.LBB8_35:
	s_or_b32 exec_lo, exec_lo, s4
.LBB8_36:
	s_barrier_signal -1
	s_barrier_wait -1
	s_wait_kmcnt 0x0
	s_and_saveexec_b32 s8, vcc_lo
	s_cbranch_execz .LBB8_57
; %bb.37:
	v_mbcnt_lo_u32_b32 v5, -1, 0
	v_mov_b32_e32 v3, 0
	v_lshl_add_u32 v4, v2, 2, 0
	v_cmp_lt_u32_e64 s0, 31, v0
	v_cmp_lt_u32_e64 s1, 63, v0
	v_xor_b32_e32 v2, 31, v5
	v_cmp_lt_u32_e64 s2, 0x5f, v0
	v_cmp_lt_u32_e64 s3, 0x7f, v0
	;; [unrolled: 1-line block ×4, first 2 shown]
	v_lshrrev_b32_e64 v2, v2, -1
	v_cmp_lt_u32_e64 s6, 0xdf, v0
	v_or_b32_e32 v5, 0xffffff00, v0
	v_mov_b32_e32 v6, 0
	s_mov_b32 s9, 0
	v_cmp_eq_u32_e32 vcc_lo, 0xff, v0
	s_branch .LBB8_39
.LBB8_38:                               ;   in Loop: Header=BB8_39 Depth=1
	s_or_b32 exec_lo, exec_lo, s7
	s_wait_dscnt 0x0
	s_barrier_signal -1
	s_barrier_wait -1
	ds_load_b32 v7, v3 offset:2076
	v_add_co_u32 v5, s7, 0x100, v5
	s_xor_b32 s7, s7, -1
	v_add_nc_u32_e32 v1, 0x400, v1
	s_and_b32 s7, exec_lo, s7
	s_delay_alu instid0(SALU_CYCLE_1)
	s_or_b32 s9, s7, s9
	s_wait_dscnt 0x0
	v_add_nc_u32_e32 v6, v7, v6
	s_and_not1_b32 exec_lo, exec_lo, s9
	s_cbranch_execz .LBB8_57
.LBB8_39:                               ; =>This Inner Loop Header: Depth=1
	ds_load_b32 v7, v1
	s_wait_dscnt 0x0
	s_barrier_signal -1
	s_barrier_wait -1
	v_cmp_gt_i32_e64 s7, s28, v7
	s_bcnt1_i32_b32 s11, s7
	s_delay_alu instid0(SALU_CYCLE_1) | instskip(NEXT) | instid1(VALU_DEP_1)
	v_dual_mov_b32 v9, s11 :: v_dual_bitop2_b32 v8, s7, v2 bitop3:0x40
	v_bcnt_u32_b32 v8, v8, 0
	ds_store_b32 v4, v9 offset:2048
	s_wait_dscnt 0x0
	s_barrier_signal -1
	s_barrier_wait -1
	s_and_saveexec_b32 s11, s0
	s_cbranch_execnz .LBB8_48
; %bb.40:                               ;   in Loop: Header=BB8_39 Depth=1
	s_or_b32 exec_lo, exec_lo, s11
	s_and_saveexec_b32 s11, s1
	s_cbranch_execnz .LBB8_49
.LBB8_41:                               ;   in Loop: Header=BB8_39 Depth=1
	s_or_b32 exec_lo, exec_lo, s11
	s_and_saveexec_b32 s11, s2
	s_cbranch_execnz .LBB8_50
.LBB8_42:                               ;   in Loop: Header=BB8_39 Depth=1
	s_or_b32 exec_lo, exec_lo, s11
	s_and_saveexec_b32 s11, s3
	s_cbranch_execnz .LBB8_51
.LBB8_43:                               ;   in Loop: Header=BB8_39 Depth=1
	s_or_b32 exec_lo, exec_lo, s11
	s_and_saveexec_b32 s11, s4
	s_cbranch_execnz .LBB8_52
.LBB8_44:                               ;   in Loop: Header=BB8_39 Depth=1
	s_or_b32 exec_lo, exec_lo, s11
	s_and_saveexec_b32 s11, s5
	s_cbranch_execnz .LBB8_53
.LBB8_45:                               ;   in Loop: Header=BB8_39 Depth=1
	s_or_b32 exec_lo, exec_lo, s11
	s_and_saveexec_b32 s11, s6
	s_cbranch_execnz .LBB8_54
.LBB8_46:                               ;   in Loop: Header=BB8_39 Depth=1
	s_or_b32 exec_lo, exec_lo, s11
	s_and_saveexec_b32 s11, s7
	s_cbranch_execnz .LBB8_55
.LBB8_47:                               ;   in Loop: Header=BB8_39 Depth=1
	s_or_b32 exec_lo, exec_lo, s11
	s_and_saveexec_b32 s7, vcc_lo
	s_cbranch_execz .LBB8_38
	s_branch .LBB8_56
.LBB8_48:                               ;   in Loop: Header=BB8_39 Depth=1
	ds_load_b32 v9, v3 offset:2048
	s_wait_dscnt 0x0
	v_add_nc_u32_e32 v8, v9, v8
	s_or_b32 exec_lo, exec_lo, s11
	s_and_saveexec_b32 s11, s1
	s_cbranch_execz .LBB8_41
.LBB8_49:                               ;   in Loop: Header=BB8_39 Depth=1
	ds_load_b32 v9, v3 offset:2052
	s_wait_dscnt 0x0
	v_add_nc_u32_e32 v8, v9, v8
	s_or_b32 exec_lo, exec_lo, s11
	s_and_saveexec_b32 s11, s2
	s_cbranch_execz .LBB8_42
.LBB8_50:                               ;   in Loop: Header=BB8_39 Depth=1
	ds_load_b32 v9, v3 offset:2056
	s_wait_dscnt 0x0
	v_add_nc_u32_e32 v8, v9, v8
	s_or_b32 exec_lo, exec_lo, s11
	s_and_saveexec_b32 s11, s3
	s_cbranch_execz .LBB8_43
.LBB8_51:                               ;   in Loop: Header=BB8_39 Depth=1
	ds_load_b32 v9, v3 offset:2060
	s_wait_dscnt 0x0
	v_add_nc_u32_e32 v8, v9, v8
	s_or_b32 exec_lo, exec_lo, s11
	s_and_saveexec_b32 s11, s4
	s_cbranch_execz .LBB8_44
.LBB8_52:                               ;   in Loop: Header=BB8_39 Depth=1
	ds_load_b32 v9, v3 offset:2064
	s_wait_dscnt 0x0
	v_add_nc_u32_e32 v8, v9, v8
	s_or_b32 exec_lo, exec_lo, s11
	s_and_saveexec_b32 s11, s5
	s_cbranch_execz .LBB8_45
.LBB8_53:                               ;   in Loop: Header=BB8_39 Depth=1
	ds_load_b32 v9, v3 offset:2068
	s_wait_dscnt 0x0
	v_add_nc_u32_e32 v8, v9, v8
	s_or_b32 exec_lo, exec_lo, s11
	s_and_saveexec_b32 s11, s6
	s_cbranch_execz .LBB8_46
.LBB8_54:                               ;   in Loop: Header=BB8_39 Depth=1
	ds_load_b32 v9, v3 offset:2072
	s_wait_dscnt 0x0
	v_add_nc_u32_e32 v8, v9, v8
	s_or_b32 exec_lo, exec_lo, s11
	s_and_saveexec_b32 s11, s7
	s_cbranch_execz .LBB8_47
.LBB8_55:                               ;   in Loop: Header=BB8_39 Depth=1
	s_delay_alu instid0(VALU_DEP_1) | instskip(NEXT) | instid1(VALU_DEP_1)
	v_dual_lshlrev_b32 v9, 2, v6 :: v_dual_lshlrev_b32 v10, 2, v8
	v_add_nc_u32_e32 v9, 0, v9
	s_delay_alu instid0(VALU_DEP_1)
	v_add3_u32 v9, v9, v10, -4
	ds_store_b32 v9, v7
	s_or_b32 exec_lo, exec_lo, s11
	s_and_saveexec_b32 s7, vcc_lo
	s_cbranch_execz .LBB8_38
.LBB8_56:                               ;   in Loop: Header=BB8_39 Depth=1
	ds_store_b32 v3, v8 offset:2076
	s_branch .LBB8_38
.LBB8_57:
	s_or_b32 exec_lo, exec_lo, s8
	s_ashr_i32 s17, s16, 31
	s_delay_alu instid0(SALU_CYCLE_1) | instskip(NEXT) | instid1(SALU_CYCLE_1)
	s_lshl_b64 s[0:1], s[16:17], 2
	s_add_nc_u64 s[2:3], s[14:15], s[0:1]
	s_load_b64 s[0:1], s[2:3], 0x0
	s_wait_kmcnt 0x0
	s_sub_co_i32 s4, s1, s0
	s_mov_b32 s1, exec_lo
	v_cmpx_gt_i32_e64 s4, v0
	s_cbranch_execz .LBB8_71
; %bb.58:
	v_sub_co_u32 v1, s1, s4, 2
	s_sub_co_i32 s2, s0, s10
	s_xor_b32 s6, s1, -1
	s_and_b32 s5, s4, -2
	v_readfirstlane_b32 s3, v1
	s_lshr_b32 s0, s3, 1
	s_mov_b32 s3, 0
	s_add_co_i32 s0, s0, 1
	s_mov_b32 s14, s3
	s_and_b32 s1, s0, 7
	s_and_b32 s7, s0, -8
	s_cmp_lg_u32 s1, 0
	v_cmp_lt_u32_e64 s0, 13, v1
	s_cselect_b32 s8, -1, 0
	s_cmp_lg_u32 s4, s5
	s_cselect_b32 s9, -1, 0
	s_lshl_b32 s11, s1, 3
	s_branch .LBB8_60
.LBB8_59:                               ;   in Loop: Header=BB8_60 Depth=1
	v_add_nc_u32_e32 v0, 0x100, v0
	s_wait_dscnt 0x0
	v_add_nc_u32_e32 v1, s10, v1
	s_delay_alu instid0(VALU_DEP_2)
	v_cmp_le_i32_e32 vcc_lo, s4, v0
	global_store_b32 v2, v1, s[12:13] scale_offset
	s_or_b32 s14, vcc_lo, s14
	s_wait_xcnt 0x0
	s_and_not1_b32 exec_lo, exec_lo, s14
	s_cbranch_execz .LBB8_71
.LBB8_60:                               ; =>This Loop Header: Depth=1
                                        ;     Child Loop BB8_63 Depth 2
                                        ;     Child Loop BB8_66 Depth 2
	;; [unrolled: 1-line block ×3, first 2 shown]
	v_lshl_add_u32 v1, v0, 2, 0
	v_mov_b32_e32 v2, s2
	s_and_not1_b32 vcc_lo, exec_lo, s6
	s_mov_b32 s1, 0
	s_mov_b32 s15, -1
	ds_load_b32 v1, v1
	s_cbranch_vccnz .LBB8_68
; %bb.61:                               ;   in Loop: Header=BB8_60 Depth=1
	v_mov_b64_e32 v[2:3], s[2:3]
	s_and_not1_b32 vcc_lo, exec_lo, s0
	s_mov_b32 s15, 0
	s_cbranch_vccnz .LBB8_64
; %bb.62:                               ;   in Loop: Header=BB8_60 Depth=1
	v_dual_mov_b32 v2, s2 :: v_dual_mov_b32 v3, 0
	s_mov_b32 s16, 0
	s_mov_b32 s17, s7
.LBB8_63:                               ;   Parent Loop BB8_60 Depth=1
                                        ; =>  This Inner Loop Header: Depth=2
	v_mov_b32_e32 v18, s16
	s_add_co_i32 s17, s17, -8
	s_add_co_i32 s15, s15, 16
	s_add_co_i32 s16, s16, 64
	s_cmp_lg_u32 s17, 0
	ds_load_2addr_b32 v[4:5], v18 offset1:1
	ds_load_2addr_b32 v[6:7], v18 offset0:2 offset1:3
	ds_load_2addr_b32 v[8:9], v18 offset0:4 offset1:5
	;; [unrolled: 1-line block ×7, first 2 shown]
	s_wait_dscnt 0x7
	v_cmp_gt_i32_e32 vcc_lo, v1, v5
	s_wait_dscnt 0x5
	v_cmp_gt_i32_e64 s1, v1, v8
	v_cndmask_b32_e64 v5, 0, 1, vcc_lo
	v_cmp_gt_i32_e32 vcc_lo, v1, v4
	v_cndmask_b32_e64 v4, 0, 1, vcc_lo
	v_cmp_gt_i32_e32 vcc_lo, v1, v6
	v_cndmask_b32_e64 v6, 0, 1, s1
	v_cmp_gt_i32_e64 s1, v1, v9
	s_delay_alu instid0(VALU_DEP_4) | instskip(NEXT) | instid1(VALU_DEP_2)
	v_add_co_ci_u32_e64 v2, null, v2, v4, vcc_lo
	v_cndmask_b32_e64 v8, 0, 1, s1
	s_wait_dscnt 0x4
	v_cmp_gt_i32_e64 s1, v1, v11
	s_wait_dscnt 0x2
	v_cmp_gt_i32_e32 vcc_lo, v1, v14
	s_delay_alu instid0(VALU_DEP_2) | instskip(SKIP_4) | instid1(VALU_DEP_3)
	v_cndmask_b32_e64 v9, 0, 1, s1
	v_cmp_gt_i32_e64 s1, v1, v10
	v_add_co_ci_u32_e64 v2, null, v2, v6, vcc_lo
	s_wait_dscnt 0x1
	v_cmp_gt_i32_e32 vcc_lo, v1, v16
	v_cndmask_b32_e64 v10, 0, 1, s1
	v_cmp_gt_i32_e64 s1, v1, v12
	s_delay_alu instid0(VALU_DEP_2) | instskip(NEXT) | instid1(VALU_DEP_2)
	v_add_co_ci_u32_e64 v2, null, v2, v10, vcc_lo
	v_cndmask_b32_e64 v11, 0, 1, s1
	v_cmp_gt_i32_e64 s1, v1, v13
	s_wait_dscnt 0x0
	v_cmp_gt_i32_e32 vcc_lo, v1, v18
	s_delay_alu instid0(VALU_DEP_2) | instskip(SKIP_2) | instid1(VALU_DEP_2)
	v_cndmask_b32_e64 v12, 0, 1, s1
	v_cmp_gt_i32_e64 s1, v1, v7
	v_add_co_ci_u32_e64 v2, null, v2, v11, vcc_lo
	v_add_co_ci_u32_e64 v3, null, v3, v5, s1
	v_cmp_gt_i32_e64 s1, v1, v15
	s_delay_alu instid0(VALU_DEP_1) | instskip(SKIP_1) | instid1(VALU_DEP_1)
	v_add_co_ci_u32_e64 v3, null, v3, v8, s1
	v_cmp_gt_i32_e64 s1, v1, v17
	v_add_co_ci_u32_e64 v3, null, v3, v9, s1
	v_cmp_gt_i32_e64 s1, v1, v19
	s_delay_alu instid0(VALU_DEP_1)
	v_add_co_ci_u32_e64 v3, null, v3, v12, s1
	s_cbranch_scc1 .LBB8_63
.LBB8_64:                               ;   in Loop: Header=BB8_60 Depth=1
	s_and_not1_b32 vcc_lo, exec_lo, s8
	s_cbranch_vccnz .LBB8_67
; %bb.65:                               ;   in Loop: Header=BB8_60 Depth=1
	s_lshl_b32 s1, s15, 2
	s_mov_b32 s15, s11
	s_add_co_i32 s1, s1, 0
.LBB8_66:                               ;   Parent Loop BB8_60 Depth=1
                                        ; =>  This Inner Loop Header: Depth=2
	s_delay_alu instid0(SALU_CYCLE_1)
	v_mov_b32_e32 v4, s1
	s_add_co_i32 s15, s15, -8
	s_add_co_i32 s1, s1, 8
	s_cmp_lg_u32 s15, 0
	ds_load_2addr_b32 v[4:5], v4 offset1:1
	s_wait_dscnt 0x0
	v_cmp_gt_i32_e32 vcc_lo, v1, v5
	v_add_co_ci_u32_e64 v3, null, 0, v3, vcc_lo
	v_cmp_gt_i32_e32 vcc_lo, v1, v4
	v_add_co_ci_u32_e64 v2, null, 0, v2, vcc_lo
	s_cbranch_scc1 .LBB8_66
.LBB8_67:                               ;   in Loop: Header=BB8_60 Depth=1
	s_delay_alu instid0(VALU_DEP_1)
	v_add_nc_u32_e32 v2, v2, v3
	s_mov_b32 s1, s5
	s_mov_b32 s15, s9
.LBB8_68:                               ;   in Loop: Header=BB8_60 Depth=1
	s_delay_alu instid0(SALU_CYCLE_1)
	s_and_b32 vcc_lo, exec_lo, s15
	s_cbranch_vccz .LBB8_59
; %bb.69:                               ;   in Loop: Header=BB8_60 Depth=1
	s_lshl_b32 s15, s1, 2
	s_delay_alu instid0(SALU_CYCLE_1)
	s_add_co_i32 s15, s15, 0
.LBB8_70:                               ;   Parent Loop BB8_60 Depth=1
                                        ; =>  This Inner Loop Header: Depth=2
	s_delay_alu instid0(SALU_CYCLE_1)
	v_mov_b32_e32 v3, s15
	s_add_co_i32 s1, s1, 1
	s_add_co_i32 s15, s15, 4
	s_cmp_ge_i32 s1, s4
	ds_load_b32 v3, v3
	s_wait_dscnt 0x0
	v_cmp_gt_i32_e32 vcc_lo, v1, v3
	v_add_co_ci_u32_e64 v2, null, 0, v2, vcc_lo
	s_cbranch_scc0 .LBB8_70
	s_branch .LBB8_59
.LBB8_71:
	s_endpgm
	.section	.rodata,"a",@progbits
	.p2align	6, 0x0
	.amdhsa_kernel _ZN9rocsparseL35csrgemm_symbolic_fill_block_per_rowILj256ELj32ELj512ELj137ELj32EiiEEvT5_PKS1_S3_PKT4_S3_S6_S3_S6_S3_S6_PS1_21rocsparse_index_base_S8_S8_S8_bb
		.amdhsa_group_segment_fixed_size 0
		.amdhsa_private_segment_fixed_size 0
		.amdhsa_kernarg_size 108
		.amdhsa_user_sgpr_count 2
		.amdhsa_user_sgpr_dispatch_ptr 0
		.amdhsa_user_sgpr_queue_ptr 0
		.amdhsa_user_sgpr_kernarg_segment_ptr 1
		.amdhsa_user_sgpr_dispatch_id 0
		.amdhsa_user_sgpr_kernarg_preload_length 0
		.amdhsa_user_sgpr_kernarg_preload_offset 0
		.amdhsa_user_sgpr_private_segment_size 0
		.amdhsa_wavefront_size32 1
		.amdhsa_uses_dynamic_stack 0
		.amdhsa_enable_private_segment 0
		.amdhsa_system_sgpr_workgroup_id_x 1
		.amdhsa_system_sgpr_workgroup_id_y 0
		.amdhsa_system_sgpr_workgroup_id_z 0
		.amdhsa_system_sgpr_workgroup_info 0
		.amdhsa_system_vgpr_workitem_id 0
		.amdhsa_next_free_vgpr 20
		.amdhsa_next_free_sgpr 31
		.amdhsa_named_barrier_count 0
		.amdhsa_reserve_vcc 1
		.amdhsa_float_round_mode_32 0
		.amdhsa_float_round_mode_16_64 0
		.amdhsa_float_denorm_mode_32 3
		.amdhsa_float_denorm_mode_16_64 3
		.amdhsa_fp16_overflow 0
		.amdhsa_memory_ordered 1
		.amdhsa_forward_progress 1
		.amdhsa_inst_pref_size 21
		.amdhsa_round_robin_scheduling 0
		.amdhsa_exception_fp_ieee_invalid_op 0
		.amdhsa_exception_fp_denorm_src 0
		.amdhsa_exception_fp_ieee_div_zero 0
		.amdhsa_exception_fp_ieee_overflow 0
		.amdhsa_exception_fp_ieee_underflow 0
		.amdhsa_exception_fp_ieee_inexact 0
		.amdhsa_exception_int_div_zero 0
	.end_amdhsa_kernel
	.section	.text._ZN9rocsparseL35csrgemm_symbolic_fill_block_per_rowILj256ELj32ELj512ELj137ELj32EiiEEvT5_PKS1_S3_PKT4_S3_S6_S3_S6_S3_S6_PS1_21rocsparse_index_base_S8_S8_S8_bb,"axG",@progbits,_ZN9rocsparseL35csrgemm_symbolic_fill_block_per_rowILj256ELj32ELj512ELj137ELj32EiiEEvT5_PKS1_S3_PKT4_S3_S6_S3_S6_S3_S6_PS1_21rocsparse_index_base_S8_S8_S8_bb,comdat
.Lfunc_end8:
	.size	_ZN9rocsparseL35csrgemm_symbolic_fill_block_per_rowILj256ELj32ELj512ELj137ELj32EiiEEvT5_PKS1_S3_PKT4_S3_S6_S3_S6_S3_S6_PS1_21rocsparse_index_base_S8_S8_S8_bb, .Lfunc_end8-_ZN9rocsparseL35csrgemm_symbolic_fill_block_per_rowILj256ELj32ELj512ELj137ELj32EiiEEvT5_PKS1_S3_PKT4_S3_S6_S3_S6_S3_S6_PS1_21rocsparse_index_base_S8_S8_S8_bb
                                        ; -- End function
	.set _ZN9rocsparseL35csrgemm_symbolic_fill_block_per_rowILj256ELj32ELj512ELj137ELj32EiiEEvT5_PKS1_S3_PKT4_S3_S6_S3_S6_S3_S6_PS1_21rocsparse_index_base_S8_S8_S8_bb.num_vgpr, 20
	.set _ZN9rocsparseL35csrgemm_symbolic_fill_block_per_rowILj256ELj32ELj512ELj137ELj32EiiEEvT5_PKS1_S3_PKT4_S3_S6_S3_S6_S3_S6_PS1_21rocsparse_index_base_S8_S8_S8_bb.num_agpr, 0
	.set _ZN9rocsparseL35csrgemm_symbolic_fill_block_per_rowILj256ELj32ELj512ELj137ELj32EiiEEvT5_PKS1_S3_PKT4_S3_S6_S3_S6_S3_S6_PS1_21rocsparse_index_base_S8_S8_S8_bb.numbered_sgpr, 31
	.set _ZN9rocsparseL35csrgemm_symbolic_fill_block_per_rowILj256ELj32ELj512ELj137ELj32EiiEEvT5_PKS1_S3_PKT4_S3_S6_S3_S6_S3_S6_PS1_21rocsparse_index_base_S8_S8_S8_bb.num_named_barrier, 0
	.set _ZN9rocsparseL35csrgemm_symbolic_fill_block_per_rowILj256ELj32ELj512ELj137ELj32EiiEEvT5_PKS1_S3_PKT4_S3_S6_S3_S6_S3_S6_PS1_21rocsparse_index_base_S8_S8_S8_bb.private_seg_size, 0
	.set _ZN9rocsparseL35csrgemm_symbolic_fill_block_per_rowILj256ELj32ELj512ELj137ELj32EiiEEvT5_PKS1_S3_PKT4_S3_S6_S3_S6_S3_S6_PS1_21rocsparse_index_base_S8_S8_S8_bb.uses_vcc, 1
	.set _ZN9rocsparseL35csrgemm_symbolic_fill_block_per_rowILj256ELj32ELj512ELj137ELj32EiiEEvT5_PKS1_S3_PKT4_S3_S6_S3_S6_S3_S6_PS1_21rocsparse_index_base_S8_S8_S8_bb.uses_flat_scratch, 0
	.set _ZN9rocsparseL35csrgemm_symbolic_fill_block_per_rowILj256ELj32ELj512ELj137ELj32EiiEEvT5_PKS1_S3_PKT4_S3_S6_S3_S6_S3_S6_PS1_21rocsparse_index_base_S8_S8_S8_bb.has_dyn_sized_stack, 0
	.set _ZN9rocsparseL35csrgemm_symbolic_fill_block_per_rowILj256ELj32ELj512ELj137ELj32EiiEEvT5_PKS1_S3_PKT4_S3_S6_S3_S6_S3_S6_PS1_21rocsparse_index_base_S8_S8_S8_bb.has_recursion, 0
	.set _ZN9rocsparseL35csrgemm_symbolic_fill_block_per_rowILj256ELj32ELj512ELj137ELj32EiiEEvT5_PKS1_S3_PKT4_S3_S6_S3_S6_S3_S6_PS1_21rocsparse_index_base_S8_S8_S8_bb.has_indirect_call, 0
	.section	.AMDGPU.csdata,"",@progbits
; Kernel info:
; codeLenInByte = 2684
; TotalNumSgprs: 33
; NumVgprs: 20
; ScratchSize: 0
; MemoryBound: 0
; FloatMode: 240
; IeeeMode: 1
; LDSByteSize: 0 bytes/workgroup (compile time only)
; SGPRBlocks: 0
; VGPRBlocks: 1
; NumSGPRsForWavesPerEU: 33
; NumVGPRsForWavesPerEU: 20
; NamedBarCnt: 0
; Occupancy: 16
; WaveLimiterHint : 1
; COMPUTE_PGM_RSRC2:SCRATCH_EN: 0
; COMPUTE_PGM_RSRC2:USER_SGPR: 2
; COMPUTE_PGM_RSRC2:TRAP_HANDLER: 0
; COMPUTE_PGM_RSRC2:TGID_X_EN: 1
; COMPUTE_PGM_RSRC2:TGID_Y_EN: 0
; COMPUTE_PGM_RSRC2:TGID_Z_EN: 0
; COMPUTE_PGM_RSRC2:TIDIG_COMP_CNT: 0
	.section	.text._ZN9rocsparseL35csrgemm_symbolic_fill_block_per_rowILj256ELj32ELj512ELj137ELj64EiiEEvT5_PKS1_S3_PKT4_S3_S6_S3_S6_S3_S6_PS1_21rocsparse_index_base_S8_S8_S8_bb,"axG",@progbits,_ZN9rocsparseL35csrgemm_symbolic_fill_block_per_rowILj256ELj32ELj512ELj137ELj64EiiEEvT5_PKS1_S3_PKT4_S3_S6_S3_S6_S3_S6_PS1_21rocsparse_index_base_S8_S8_S8_bb,comdat
	.globl	_ZN9rocsparseL35csrgemm_symbolic_fill_block_per_rowILj256ELj32ELj512ELj137ELj64EiiEEvT5_PKS1_S3_PKT4_S3_S6_S3_S6_S3_S6_PS1_21rocsparse_index_base_S8_S8_S8_bb ; -- Begin function _ZN9rocsparseL35csrgemm_symbolic_fill_block_per_rowILj256ELj32ELj512ELj137ELj64EiiEEvT5_PKS1_S3_PKT4_S3_S6_S3_S6_S3_S6_PS1_21rocsparse_index_base_S8_S8_S8_bb
	.p2align	8
	.type	_ZN9rocsparseL35csrgemm_symbolic_fill_block_per_rowILj256ELj32ELj512ELj137ELj64EiiEEvT5_PKS1_S3_PKT4_S3_S6_S3_S6_S3_S6_PS1_21rocsparse_index_base_S8_S8_S8_bb,@function
_ZN9rocsparseL35csrgemm_symbolic_fill_block_per_rowILj256ELj32ELj512ELj137ELj64EiiEEvT5_PKS1_S3_PKT4_S3_S6_S3_S6_S3_S6_PS1_21rocsparse_index_base_S8_S8_S8_bb: ; @_ZN9rocsparseL35csrgemm_symbolic_fill_block_per_rowILj256ELj32ELj512ELj137ELj64EiiEEvT5_PKS1_S3_PKT4_S3_S6_S3_S6_S3_S6_PS1_21rocsparse_index_base_S8_S8_S8_bb
; %bb.0:
	s_clause 0x5
	s_load_b32 s26, s[0:1], 0x0
	s_load_b128 s[8:11], s[0:1], 0x8
	s_load_b64 s[12:13], s[0:1], 0x50
	s_load_b64 s[2:3], s[0:1], 0x40
	;; [unrolled: 1-line block ×4, first 2 shown]
	v_cmp_gt_u32_e32 vcc_lo, 0x200, v0
	v_lshl_add_u32 v1, v0, 2, 0
	s_and_saveexec_b32 s6, vcc_lo
	s_cbranch_execz .LBB9_7
; %bb.1:
	v_lshl_add_u32 v2, v0, 2, 0
	s_mov_b32 s7, 0
	s_mov_b32 s4, 0
	s_branch .LBB9_3
.LBB9_2:                                ;   in Loop: Header=BB9_3 Depth=1
	s_or_b32 exec_lo, exec_lo, s14
	s_add_co_i32 s4, s4, 2
	v_add_nc_u32_e32 v2, 0x800, v2
	v_cmp_eq_u32_e64 s5, 2, s4
	s_or_b32 s7, s5, s7
	s_delay_alu instid0(SALU_CYCLE_1)
	s_and_not1_b32 exec_lo, exec_lo, s7
	s_cbranch_execz .LBB9_7
.LBB9_3:                                ; =>This Inner Loop Header: Depth=1
	s_mov_b32 s5, s4
	s_delay_alu instid0(SALU_CYCLE_1) | instskip(NEXT) | instid1(SALU_CYCLE_1)
	s_or_b64 s[14:15], s[4:5], 0x100000000
	v_cmp_le_u32_e64 s5, s15, 1
	v_cmp_le_u32_e64 s15, s14, 1
	s_and_saveexec_b32 s14, s15
	s_cbranch_execz .LBB9_5
; %bb.4:                                ;   in Loop: Header=BB9_3 Depth=1
	s_wait_kmcnt 0x0
	v_mov_b32_e32 v3, s26
	ds_store_b32 v2, v3
.LBB9_5:                                ;   in Loop: Header=BB9_3 Depth=1
	s_or_b32 exec_lo, exec_lo, s14
	s_and_saveexec_b32 s14, s5
	s_cbranch_execz .LBB9_2
; %bb.6:                                ;   in Loop: Header=BB9_3 Depth=1
	s_wait_kmcnt 0x0
	v_mov_b32_e32 v3, s26
	ds_store_b32 v2, v3 offset:1024
	s_branch .LBB9_2
.LBB9_7:
	s_or_b32 exec_lo, exec_lo, s6
	s_clause 0x3
	s_load_b64 s[14:15], s[0:1], 0x48
	s_load_b64 s[24:25], s[0:1], 0x18
	;; [unrolled: 1-line block ×4, first 2 shown]
	s_wait_dscnt 0x0
	s_barrier_signal -1
	s_barrier_wait -1
	s_wait_kmcnt 0x0
	s_load_b32 s4, s[8:9], 0x0
	s_bfe_u32 s5, ttmp6, 0x4000c
	s_and_b32 s6, ttmp6, 15
	s_add_co_i32 s5, s5, 1
	s_getreg_b32 s7, hwreg(HW_REG_IB_STS2, 6, 4)
	s_mul_i32 s5, ttmp9, s5
	s_load_b32 s27, s[0:1], 0x68
	s_add_co_i32 s6, s6, s5
	s_cmp_eq_u32 s7, 0
	s_cselect_b32 s5, ttmp9, s6
	s_wait_kmcnt 0x0
	s_add_co_i32 s9, s4, s5
	s_load_b128 s[4:7], s[0:1], 0x58
	s_load_b32 s8, s[10:11], s9 offset:0x0 scale_offset
	s_bitcmp0_b32 s27, 0
	s_cbranch_scc1 .LBB9_23
; %bb.8:
	s_wait_kmcnt 0x0
	s_ashr_i32 s9, s8, 31
	v_lshrrev_b32_e32 v2, 5, v0
	s_lshl_b64 s[0:1], s[8:9], 2
	s_mov_b32 s9, exec_lo
	s_add_nc_u64 s[0:1], s[24:25], s[0:1]
	s_delay_alu instid0(VALU_DEP_1) | instskip(SKIP_2) | instid1(VALU_DEP_1)
	v_subrev_nc_u32_e32 v2, s4, v2
	s_load_b64 s[10:11], s[0:1], 0x0
	s_wait_kmcnt 0x0
	v_add_nc_u32_e32 v2, s10, v2
	s_sub_co_i32 s1, s11, s4
	s_delay_alu instid0(VALU_DEP_1) | instid1(SALU_CYCLE_1)
	v_cmpx_gt_i32_e64 s1, v2
	s_cbranch_execz .LBB9_22
; %bb.9:
	v_and_b32_e32 v3, 31, v0
	s_mov_b32 s10, 0
	s_delay_alu instid0(VALU_DEP_1)
	v_subrev_nc_u32_e32 v3, s5, v3
	s_branch .LBB9_11
.LBB9_10:                               ;   in Loop: Header=BB9_11 Depth=1
	s_or_b32 exec_lo, exec_lo, s11
	v_add_nc_u32_e32 v2, 8, v2
	s_delay_alu instid0(VALU_DEP_1) | instskip(SKIP_1) | instid1(SALU_CYCLE_1)
	v_cmp_le_i32_e64 s0, s1, v2
	s_or_b32 s10, s0, s10
	s_and_not1_b32 exec_lo, exec_lo, s10
	s_cbranch_execz .LBB9_22
.LBB9_11:                               ; =>This Loop Header: Depth=1
                                        ;     Child Loop BB9_14 Depth 2
                                        ;       Child Loop BB9_17 Depth 3
	global_load_b32 v4, v2, s[16:17] scale_offset
	s_mov_b32 s11, exec_lo
	s_wait_loadcnt 0x0
	v_subrev_nc_u32_e32 v4, s4, v4
	s_delay_alu instid0(VALU_DEP_1) | instskip(NEXT) | instid1(VALU_DEP_1)
	v_ashrrev_i32_e32 v5, 31, v4
	v_lshl_add_u64 v[4:5], v[4:5], 2, s[22:23]
	global_load_b64 v[6:7], v[4:5], off
	s_wait_loadcnt 0x0
	v_subrev_nc_u32_e32 v4, s5, v7
	v_add_nc_u32_e32 v5, v6, v3
	s_delay_alu instid0(VALU_DEP_1)
	v_cmpx_lt_i32_e64 v5, v4
	s_cbranch_execz .LBB9_10
; %bb.12:                               ;   in Loop: Header=BB9_11 Depth=1
	s_mov_b32 s24, 0
	s_branch .LBB9_14
.LBB9_13:                               ;   in Loop: Header=BB9_14 Depth=2
	s_or_b32 exec_lo, exec_lo, s25
	v_add_nc_u32_e32 v5, 32, v5
	s_delay_alu instid0(VALU_DEP_1) | instskip(SKIP_1) | instid1(SALU_CYCLE_1)
	v_cmp_ge_i32_e64 s0, v5, v4
	s_or_b32 s24, s0, s24
	s_and_not1_b32 exec_lo, exec_lo, s24
	s_cbranch_execz .LBB9_10
.LBB9_14:                               ;   Parent Loop BB9_11 Depth=1
                                        ; =>  This Loop Header: Depth=2
                                        ;       Child Loop BB9_17 Depth 3
	global_load_b32 v6, v5, s[18:19] scale_offset
	s_mov_b32 s25, 0
                                        ; implicit-def: $sgpr28
	s_wait_loadcnt 0x0
	v_subrev_nc_u32_e32 v6, s5, v6
	s_delay_alu instid0(VALU_DEP_1) | instskip(NEXT) | instid1(VALU_DEP_1)
	v_mul_lo_u32 v7, 0x89, v6
	v_and_b32_e32 v7, 0x1ff, v7
	s_branch .LBB9_17
.LBB9_15:                               ;   in Loop: Header=BB9_17 Depth=3
	s_or_b32 exec_lo, exec_lo, s30
	s_delay_alu instid0(SALU_CYCLE_1) | instskip(SKIP_1) | instid1(SALU_CYCLE_1)
	s_and_not1_b32 s28, s28, exec_lo
	s_and_b32 s0, s0, exec_lo
	s_or_b32 s28, s28, s0
.LBB9_16:                               ;   in Loop: Header=BB9_17 Depth=3
	s_or_b32 exec_lo, exec_lo, s29
	s_xor_b32 s0, s28, -1
	s_delay_alu instid0(SALU_CYCLE_1) | instskip(NEXT) | instid1(SALU_CYCLE_1)
	s_and_b32 s0, exec_lo, s0
	s_or_b32 s25, s0, s25
	s_delay_alu instid0(SALU_CYCLE_1)
	s_and_not1_b32 exec_lo, exec_lo, s25
	s_cbranch_execz .LBB9_13
.LBB9_17:                               ;   Parent Loop BB9_11 Depth=1
                                        ;     Parent Loop BB9_14 Depth=2
                                        ; =>    This Inner Loop Header: Depth=3
	s_delay_alu instid0(VALU_DEP_1)
	v_lshl_add_u32 v8, v7, 2, 0
	s_and_not1_b32 s28, s28, exec_lo
	s_mov_b32 s29, exec_lo
	ds_load_b32 v9, v8
	s_wait_dscnt 0x0
	v_cmpx_ne_u32_e64 v9, v6
	s_cbranch_execz .LBB9_16
; %bb.18:                               ;   in Loop: Header=BB9_17 Depth=3
	v_cmp_ne_u32_e64 s0, s26, v9
	s_and_saveexec_b32 s30, s0
	s_delay_alu instid0(SALU_CYCLE_1)
	s_xor_b32 s0, exec_lo, s30
; %bb.19:                               ;   in Loop: Header=BB9_17 Depth=3
	v_add_nc_u32_e32 v7, 1, v7
                                        ; implicit-def: $vgpr8
	s_delay_alu instid0(VALU_DEP_1)
	v_and_b32_e32 v7, 0x1ff, v7
; %bb.20:                               ;   in Loop: Header=BB9_17 Depth=3
	s_or_saveexec_b32 s30, s0
	s_mov_b32 s0, -1
	s_xor_b32 exec_lo, exec_lo, s30
	s_cbranch_execz .LBB9_15
; %bb.21:                               ;   in Loop: Header=BB9_17 Depth=3
	v_mov_b32_e32 v9, s26
	ds_cmpstore_rtn_b32 v8, v8, v6, v9
	s_wait_dscnt 0x0
	v_cmp_ne_u32_e64 s0, s26, v8
	s_or_not1_b32 s0, s0, exec_lo
	s_branch .LBB9_15
.LBB9_22:
	s_or_b32 exec_lo, exec_lo, s9
.LBB9_23:
	s_wait_xcnt 0x0
	s_bfe_u32 s0, s27, 0x10008
	s_delay_alu instid0(SALU_CYCLE_1)
	s_cmp_eq_u32 s0, 0
	s_cbranch_scc1 .LBB9_36
; %bb.24:
	s_wait_kmcnt 0x0
	s_ashr_i32 s9, s8, 31
	v_subrev_nc_u32_e32 v2, s7, v0
	s_lshl_b64 s[0:1], s[8:9], 2
	s_delay_alu instid0(SALU_CYCLE_1)
	s_add_nc_u64 s[0:1], s[20:21], s[0:1]
	s_load_b64 s[4:5], s[0:1], 0x0
	s_wait_kmcnt 0x0
	v_add_nc_u32_e32 v2, s4, v2
	s_sub_co_i32 s1, s5, s7
	s_mov_b32 s4, exec_lo
	s_delay_alu instid0(VALU_DEP_1)
	v_cmpx_gt_i32_e64 s1, v2
	s_cbranch_execz .LBB9_35
; %bb.25:
	s_mov_b32 s5, 0
	s_branch .LBB9_27
.LBB9_26:                               ;   in Loop: Header=BB9_27 Depth=1
	s_or_b32 exec_lo, exec_lo, s9
	v_add_nc_u32_e32 v2, 0x100, v2
	s_delay_alu instid0(VALU_DEP_1) | instskip(SKIP_1) | instid1(SALU_CYCLE_1)
	v_cmp_le_i32_e64 s0, s1, v2
	s_or_b32 s5, s0, s5
	s_and_not1_b32 exec_lo, exec_lo, s5
	s_cbranch_execz .LBB9_35
.LBB9_27:                               ; =>This Loop Header: Depth=1
                                        ;     Child Loop BB9_30 Depth 2
	global_load_b32 v3, v2, s[2:3] scale_offset
	s_mov_b32 s9, 0
                                        ; implicit-def: $sgpr10
	s_wait_loadcnt 0x0
	v_subrev_nc_u32_e32 v3, s7, v3
	s_delay_alu instid0(VALU_DEP_1) | instskip(NEXT) | instid1(VALU_DEP_1)
	v_mul_lo_u32 v4, 0x89, v3
	v_and_b32_e32 v4, 0x1ff, v4
	s_branch .LBB9_30
.LBB9_28:                               ;   in Loop: Header=BB9_30 Depth=2
	s_or_b32 exec_lo, exec_lo, s16
	s_delay_alu instid0(SALU_CYCLE_1) | instskip(SKIP_1) | instid1(SALU_CYCLE_1)
	s_and_not1_b32 s10, s10, exec_lo
	s_and_b32 s0, s0, exec_lo
	s_or_b32 s10, s10, s0
.LBB9_29:                               ;   in Loop: Header=BB9_30 Depth=2
	s_or_b32 exec_lo, exec_lo, s11
	s_xor_b32 s0, s10, -1
	s_delay_alu instid0(SALU_CYCLE_1) | instskip(NEXT) | instid1(SALU_CYCLE_1)
	s_and_b32 s0, exec_lo, s0
	s_or_b32 s9, s0, s9
	s_delay_alu instid0(SALU_CYCLE_1)
	s_and_not1_b32 exec_lo, exec_lo, s9
	s_cbranch_execz .LBB9_26
.LBB9_30:                               ;   Parent Loop BB9_27 Depth=1
                                        ; =>  This Inner Loop Header: Depth=2
	s_delay_alu instid0(VALU_DEP_1)
	v_lshl_add_u32 v5, v4, 2, 0
	s_and_not1_b32 s10, s10, exec_lo
	s_mov_b32 s11, exec_lo
	ds_load_b32 v6, v5
	s_wait_dscnt 0x0
	v_cmpx_ne_u32_e64 v6, v3
	s_cbranch_execz .LBB9_29
; %bb.31:                               ;   in Loop: Header=BB9_30 Depth=2
	v_cmp_ne_u32_e64 s0, s26, v6
	s_and_saveexec_b32 s16, s0
	s_delay_alu instid0(SALU_CYCLE_1)
	s_xor_b32 s0, exec_lo, s16
; %bb.32:                               ;   in Loop: Header=BB9_30 Depth=2
	v_add_nc_u32_e32 v4, 1, v4
                                        ; implicit-def: $vgpr5
	s_delay_alu instid0(VALU_DEP_1)
	v_and_b32_e32 v4, 0x1ff, v4
; %bb.33:                               ;   in Loop: Header=BB9_30 Depth=2
	s_or_saveexec_b32 s16, s0
	s_mov_b32 s0, -1
	s_xor_b32 exec_lo, exec_lo, s16
	s_cbranch_execz .LBB9_28
; %bb.34:                               ;   in Loop: Header=BB9_30 Depth=2
	v_mov_b32_e32 v6, s26
	ds_cmpstore_rtn_b32 v5, v5, v3, v6
	s_wait_dscnt 0x0
	v_cmp_ne_u32_e64 s0, s26, v5
	s_or_not1_b32 s0, s0, exec_lo
	s_branch .LBB9_28
.LBB9_35:
	s_or_b32 exec_lo, exec_lo, s4
.LBB9_36:
	s_barrier_signal -1
	s_barrier_wait -1
	s_wait_kmcnt 0x0
	s_and_saveexec_b32 s4, vcc_lo
	s_cbranch_execz .LBB9_49
; %bb.37:
	v_mbcnt_lo_u32_b32 v2, -1, 0
	v_dual_mov_b32 v3, 0 :: v_dual_lshrrev_b32 v4, 4, v0
	v_cmp_lt_u32_e64 s0, 63, v0
	v_cmp_lt_u32_e64 s1, 0x7f, v0
	s_delay_alu instid0(VALU_DEP_3)
	v_dual_mov_b32 v6, 0 :: v_dual_bitop2_b32 v4, 12, v4 bitop3:0x40
	v_xor_b32_e32 v2, 31, v2
	v_cmp_lt_u32_e64 s2, 0xbf, v0
	v_or_b32_e32 v5, 0xffffff00, v0
	s_mov_b32 s5, 0
	v_add_nc_u32_e32 v4, 0, v4
	v_lshrrev_b32_e64 v2, v2, -1
	v_cmp_eq_u32_e32 vcc_lo, 0xff, v0
	s_branch .LBB9_39
.LBB9_38:                               ;   in Loop: Header=BB9_39 Depth=1
	s_or_b32 exec_lo, exec_lo, s3
	s_wait_dscnt 0x0
	s_barrier_signal -1
	s_barrier_wait -1
	ds_load_b32 v7, v3 offset:2060
	v_add_co_u32 v5, s3, 0x100, v5
	s_xor_b32 s3, s3, -1
	v_add_nc_u32_e32 v1, 0x400, v1
	s_and_b32 s3, exec_lo, s3
	s_delay_alu instid0(SALU_CYCLE_1)
	s_or_b32 s5, s3, s5
	s_wait_dscnt 0x0
	v_add_nc_u32_e32 v6, v7, v6
	s_and_not1_b32 exec_lo, exec_lo, s5
	s_cbranch_execz .LBB9_49
.LBB9_39:                               ; =>This Inner Loop Header: Depth=1
	ds_load_b32 v7, v1
	s_wait_dscnt 0x0
	s_barrier_signal -1
	s_barrier_wait -1
	v_cmp_gt_i32_e64 s3, s26, v7
	s_bcnt1_i32_b32 s7, s3
	s_delay_alu instid0(SALU_CYCLE_1) | instskip(NEXT) | instid1(VALU_DEP_1)
	v_dual_mov_b32 v9, s7 :: v_dual_bitop2_b32 v8, s3, v2 bitop3:0x40
	v_bcnt_u32_b32 v8, v8, 0
	ds_store_b32 v4, v9 offset:2048
	s_wait_dscnt 0x0
	s_barrier_signal -1
	s_barrier_wait -1
	s_and_saveexec_b32 s7, s0
	s_cbranch_execnz .LBB9_44
; %bb.40:                               ;   in Loop: Header=BB9_39 Depth=1
	s_or_b32 exec_lo, exec_lo, s7
	s_and_saveexec_b32 s7, s1
	s_cbranch_execnz .LBB9_45
.LBB9_41:                               ;   in Loop: Header=BB9_39 Depth=1
	s_or_b32 exec_lo, exec_lo, s7
	s_and_saveexec_b32 s7, s2
	s_cbranch_execnz .LBB9_46
.LBB9_42:                               ;   in Loop: Header=BB9_39 Depth=1
	s_or_b32 exec_lo, exec_lo, s7
	s_and_saveexec_b32 s7, s3
	s_cbranch_execnz .LBB9_47
.LBB9_43:                               ;   in Loop: Header=BB9_39 Depth=1
	s_or_b32 exec_lo, exec_lo, s7
	s_and_saveexec_b32 s3, vcc_lo
	s_cbranch_execz .LBB9_38
	s_branch .LBB9_48
.LBB9_44:                               ;   in Loop: Header=BB9_39 Depth=1
	ds_load_b32 v9, v3 offset:2048
	s_wait_dscnt 0x0
	v_add_nc_u32_e32 v8, v9, v8
	s_or_b32 exec_lo, exec_lo, s7
	s_and_saveexec_b32 s7, s1
	s_cbranch_execz .LBB9_41
.LBB9_45:                               ;   in Loop: Header=BB9_39 Depth=1
	ds_load_b32 v9, v3 offset:2052
	s_wait_dscnt 0x0
	v_add_nc_u32_e32 v8, v9, v8
	s_or_b32 exec_lo, exec_lo, s7
	s_and_saveexec_b32 s7, s2
	s_cbranch_execz .LBB9_42
.LBB9_46:                               ;   in Loop: Header=BB9_39 Depth=1
	ds_load_b32 v9, v3 offset:2056
	s_wait_dscnt 0x0
	v_add_nc_u32_e32 v8, v9, v8
	s_or_b32 exec_lo, exec_lo, s7
	s_and_saveexec_b32 s7, s3
	s_cbranch_execz .LBB9_43
.LBB9_47:                               ;   in Loop: Header=BB9_39 Depth=1
	s_delay_alu instid0(VALU_DEP_1) | instskip(NEXT) | instid1(VALU_DEP_1)
	v_dual_lshlrev_b32 v9, 2, v6 :: v_dual_lshlrev_b32 v10, 2, v8
	v_add_nc_u32_e32 v9, 0, v9
	s_delay_alu instid0(VALU_DEP_1)
	v_add3_u32 v9, v9, v10, -4
	ds_store_b32 v9, v7
	s_or_b32 exec_lo, exec_lo, s7
	s_and_saveexec_b32 s3, vcc_lo
	s_cbranch_execz .LBB9_38
.LBB9_48:                               ;   in Loop: Header=BB9_39 Depth=1
	ds_store_b32 v3, v8 offset:2060
	s_branch .LBB9_38
.LBB9_49:
	s_or_b32 exec_lo, exec_lo, s4
	s_ashr_i32 s9, s8, 31
	s_delay_alu instid0(SALU_CYCLE_1) | instskip(NEXT) | instid1(SALU_CYCLE_1)
	s_lshl_b64 s[0:1], s[8:9], 2
	s_add_nc_u64 s[2:3], s[14:15], s[0:1]
	s_load_b64 s[0:1], s[2:3], 0x0
	s_wait_kmcnt 0x0
	s_sub_co_i32 s4, s1, s0
	s_mov_b32 s1, exec_lo
	v_cmpx_gt_i32_e64 s4, v0
	s_cbranch_execz .LBB9_63
; %bb.50:
	v_sub_co_u32 v1, s1, s4, 2
	s_sub_co_i32 s2, s0, s6
	s_xor_b32 s7, s1, -1
	s_and_b32 s5, s4, -2
	v_readfirstlane_b32 s3, v1
	s_lshr_b32 s0, s3, 1
	s_mov_b32 s3, 0
	s_add_co_i32 s0, s0, 1
	s_mov_b32 s14, s3
	s_and_b32 s1, s0, 7
	s_and_b32 s8, s0, -8
	s_cmp_lg_u32 s1, 0
	v_cmp_lt_u32_e64 s0, 13, v1
	s_cselect_b32 s9, -1, 0
	s_cmp_lg_u32 s4, s5
	s_cselect_b32 s10, -1, 0
	s_lshl_b32 s11, s1, 3
	s_branch .LBB9_52
.LBB9_51:                               ;   in Loop: Header=BB9_52 Depth=1
	v_add_nc_u32_e32 v0, 0x100, v0
	s_wait_dscnt 0x0
	v_add_nc_u32_e32 v1, s6, v1
	s_delay_alu instid0(VALU_DEP_2)
	v_cmp_le_i32_e32 vcc_lo, s4, v0
	global_store_b32 v2, v1, s[12:13] scale_offset
	s_or_b32 s14, vcc_lo, s14
	s_wait_xcnt 0x0
	s_and_not1_b32 exec_lo, exec_lo, s14
	s_cbranch_execz .LBB9_63
.LBB9_52:                               ; =>This Loop Header: Depth=1
                                        ;     Child Loop BB9_55 Depth 2
                                        ;     Child Loop BB9_58 Depth 2
	;; [unrolled: 1-line block ×3, first 2 shown]
	v_lshl_add_u32 v1, v0, 2, 0
	v_mov_b32_e32 v2, s2
	s_and_not1_b32 vcc_lo, exec_lo, s7
	s_mov_b32 s1, 0
	s_mov_b32 s15, -1
	ds_load_b32 v1, v1
	s_cbranch_vccnz .LBB9_60
; %bb.53:                               ;   in Loop: Header=BB9_52 Depth=1
	v_mov_b64_e32 v[2:3], s[2:3]
	s_and_not1_b32 vcc_lo, exec_lo, s0
	s_mov_b32 s15, 0
	s_cbranch_vccnz .LBB9_56
; %bb.54:                               ;   in Loop: Header=BB9_52 Depth=1
	v_dual_mov_b32 v2, s2 :: v_dual_mov_b32 v3, 0
	s_mov_b32 s16, 0
	s_mov_b32 s17, s8
.LBB9_55:                               ;   Parent Loop BB9_52 Depth=1
                                        ; =>  This Inner Loop Header: Depth=2
	v_mov_b32_e32 v18, s16
	s_add_co_i32 s17, s17, -8
	s_add_co_i32 s15, s15, 16
	s_add_co_i32 s16, s16, 64
	s_cmp_lg_u32 s17, 0
	ds_load_2addr_b32 v[4:5], v18 offset1:1
	ds_load_2addr_b32 v[6:7], v18 offset0:2 offset1:3
	ds_load_2addr_b32 v[8:9], v18 offset0:4 offset1:5
	;; [unrolled: 1-line block ×7, first 2 shown]
	s_wait_dscnt 0x7
	v_cmp_gt_i32_e32 vcc_lo, v1, v5
	s_wait_dscnt 0x5
	v_cmp_gt_i32_e64 s1, v1, v8
	v_cndmask_b32_e64 v5, 0, 1, vcc_lo
	v_cmp_gt_i32_e32 vcc_lo, v1, v4
	v_cndmask_b32_e64 v4, 0, 1, vcc_lo
	v_cmp_gt_i32_e32 vcc_lo, v1, v6
	v_cndmask_b32_e64 v6, 0, 1, s1
	v_cmp_gt_i32_e64 s1, v1, v9
	s_delay_alu instid0(VALU_DEP_4) | instskip(NEXT) | instid1(VALU_DEP_2)
	v_add_co_ci_u32_e64 v2, null, v2, v4, vcc_lo
	v_cndmask_b32_e64 v8, 0, 1, s1
	s_wait_dscnt 0x4
	v_cmp_gt_i32_e64 s1, v1, v11
	s_wait_dscnt 0x2
	v_cmp_gt_i32_e32 vcc_lo, v1, v14
	s_delay_alu instid0(VALU_DEP_2) | instskip(SKIP_4) | instid1(VALU_DEP_3)
	v_cndmask_b32_e64 v9, 0, 1, s1
	v_cmp_gt_i32_e64 s1, v1, v10
	v_add_co_ci_u32_e64 v2, null, v2, v6, vcc_lo
	s_wait_dscnt 0x1
	v_cmp_gt_i32_e32 vcc_lo, v1, v16
	v_cndmask_b32_e64 v10, 0, 1, s1
	v_cmp_gt_i32_e64 s1, v1, v12
	s_delay_alu instid0(VALU_DEP_2) | instskip(NEXT) | instid1(VALU_DEP_2)
	v_add_co_ci_u32_e64 v2, null, v2, v10, vcc_lo
	v_cndmask_b32_e64 v11, 0, 1, s1
	v_cmp_gt_i32_e64 s1, v1, v13
	s_wait_dscnt 0x0
	v_cmp_gt_i32_e32 vcc_lo, v1, v18
	s_delay_alu instid0(VALU_DEP_2) | instskip(SKIP_2) | instid1(VALU_DEP_2)
	v_cndmask_b32_e64 v12, 0, 1, s1
	v_cmp_gt_i32_e64 s1, v1, v7
	v_add_co_ci_u32_e64 v2, null, v2, v11, vcc_lo
	v_add_co_ci_u32_e64 v3, null, v3, v5, s1
	v_cmp_gt_i32_e64 s1, v1, v15
	s_delay_alu instid0(VALU_DEP_1) | instskip(SKIP_1) | instid1(VALU_DEP_1)
	v_add_co_ci_u32_e64 v3, null, v3, v8, s1
	v_cmp_gt_i32_e64 s1, v1, v17
	v_add_co_ci_u32_e64 v3, null, v3, v9, s1
	v_cmp_gt_i32_e64 s1, v1, v19
	s_delay_alu instid0(VALU_DEP_1)
	v_add_co_ci_u32_e64 v3, null, v3, v12, s1
	s_cbranch_scc1 .LBB9_55
.LBB9_56:                               ;   in Loop: Header=BB9_52 Depth=1
	s_and_not1_b32 vcc_lo, exec_lo, s9
	s_cbranch_vccnz .LBB9_59
; %bb.57:                               ;   in Loop: Header=BB9_52 Depth=1
	s_lshl_b32 s1, s15, 2
	s_mov_b32 s15, s11
	s_add_co_i32 s1, s1, 0
.LBB9_58:                               ;   Parent Loop BB9_52 Depth=1
                                        ; =>  This Inner Loop Header: Depth=2
	s_delay_alu instid0(SALU_CYCLE_1)
	v_mov_b32_e32 v4, s1
	s_add_co_i32 s15, s15, -8
	s_add_co_i32 s1, s1, 8
	s_cmp_lg_u32 s15, 0
	ds_load_2addr_b32 v[4:5], v4 offset1:1
	s_wait_dscnt 0x0
	v_cmp_gt_i32_e32 vcc_lo, v1, v5
	v_add_co_ci_u32_e64 v3, null, 0, v3, vcc_lo
	v_cmp_gt_i32_e32 vcc_lo, v1, v4
	v_add_co_ci_u32_e64 v2, null, 0, v2, vcc_lo
	s_cbranch_scc1 .LBB9_58
.LBB9_59:                               ;   in Loop: Header=BB9_52 Depth=1
	s_delay_alu instid0(VALU_DEP_1)
	v_add_nc_u32_e32 v2, v2, v3
	s_mov_b32 s1, s5
	s_mov_b32 s15, s10
.LBB9_60:                               ;   in Loop: Header=BB9_52 Depth=1
	s_delay_alu instid0(SALU_CYCLE_1)
	s_and_b32 vcc_lo, exec_lo, s15
	s_cbranch_vccz .LBB9_51
; %bb.61:                               ;   in Loop: Header=BB9_52 Depth=1
	s_lshl_b32 s15, s1, 2
	s_delay_alu instid0(SALU_CYCLE_1)
	s_add_co_i32 s15, s15, 0
.LBB9_62:                               ;   Parent Loop BB9_52 Depth=1
                                        ; =>  This Inner Loop Header: Depth=2
	s_delay_alu instid0(SALU_CYCLE_1)
	v_mov_b32_e32 v3, s15
	s_add_co_i32 s1, s1, 1
	s_add_co_i32 s15, s15, 4
	s_cmp_ge_i32 s1, s4
	ds_load_b32 v3, v3
	s_wait_dscnt 0x0
	v_cmp_gt_i32_e32 vcc_lo, v1, v3
	v_add_co_ci_u32_e64 v2, null, 0, v2, vcc_lo
	s_cbranch_scc0 .LBB9_62
	s_branch .LBB9_51
.LBB9_63:
	s_endpgm
	.section	.rodata,"a",@progbits
	.p2align	6, 0x0
	.amdhsa_kernel _ZN9rocsparseL35csrgemm_symbolic_fill_block_per_rowILj256ELj32ELj512ELj137ELj64EiiEEvT5_PKS1_S3_PKT4_S3_S6_S3_S6_S3_S6_PS1_21rocsparse_index_base_S8_S8_S8_bb
		.amdhsa_group_segment_fixed_size 0
		.amdhsa_private_segment_fixed_size 0
		.amdhsa_kernarg_size 108
		.amdhsa_user_sgpr_count 2
		.amdhsa_user_sgpr_dispatch_ptr 0
		.amdhsa_user_sgpr_queue_ptr 0
		.amdhsa_user_sgpr_kernarg_segment_ptr 1
		.amdhsa_user_sgpr_dispatch_id 0
		.amdhsa_user_sgpr_kernarg_preload_length 0
		.amdhsa_user_sgpr_kernarg_preload_offset 0
		.amdhsa_user_sgpr_private_segment_size 0
		.amdhsa_wavefront_size32 1
		.amdhsa_uses_dynamic_stack 0
		.amdhsa_enable_private_segment 0
		.amdhsa_system_sgpr_workgroup_id_x 1
		.amdhsa_system_sgpr_workgroup_id_y 0
		.amdhsa_system_sgpr_workgroup_id_z 0
		.amdhsa_system_sgpr_workgroup_info 0
		.amdhsa_system_vgpr_workitem_id 0
		.amdhsa_next_free_vgpr 20
		.amdhsa_next_free_sgpr 31
		.amdhsa_named_barrier_count 0
		.amdhsa_reserve_vcc 1
		.amdhsa_float_round_mode_32 0
		.amdhsa_float_round_mode_16_64 0
		.amdhsa_float_denorm_mode_32 3
		.amdhsa_float_denorm_mode_16_64 3
		.amdhsa_fp16_overflow 0
		.amdhsa_memory_ordered 1
		.amdhsa_forward_progress 1
		.amdhsa_inst_pref_size 20
		.amdhsa_round_robin_scheduling 0
		.amdhsa_exception_fp_ieee_invalid_op 0
		.amdhsa_exception_fp_denorm_src 0
		.amdhsa_exception_fp_ieee_div_zero 0
		.amdhsa_exception_fp_ieee_overflow 0
		.amdhsa_exception_fp_ieee_underflow 0
		.amdhsa_exception_fp_ieee_inexact 0
		.amdhsa_exception_int_div_zero 0
	.end_amdhsa_kernel
	.section	.text._ZN9rocsparseL35csrgemm_symbolic_fill_block_per_rowILj256ELj32ELj512ELj137ELj64EiiEEvT5_PKS1_S3_PKT4_S3_S6_S3_S6_S3_S6_PS1_21rocsparse_index_base_S8_S8_S8_bb,"axG",@progbits,_ZN9rocsparseL35csrgemm_symbolic_fill_block_per_rowILj256ELj32ELj512ELj137ELj64EiiEEvT5_PKS1_S3_PKT4_S3_S6_S3_S6_S3_S6_PS1_21rocsparse_index_base_S8_S8_S8_bb,comdat
.Lfunc_end9:
	.size	_ZN9rocsparseL35csrgemm_symbolic_fill_block_per_rowILj256ELj32ELj512ELj137ELj64EiiEEvT5_PKS1_S3_PKT4_S3_S6_S3_S6_S3_S6_PS1_21rocsparse_index_base_S8_S8_S8_bb, .Lfunc_end9-_ZN9rocsparseL35csrgemm_symbolic_fill_block_per_rowILj256ELj32ELj512ELj137ELj64EiiEEvT5_PKS1_S3_PKT4_S3_S6_S3_S6_S3_S6_PS1_21rocsparse_index_base_S8_S8_S8_bb
                                        ; -- End function
	.set _ZN9rocsparseL35csrgemm_symbolic_fill_block_per_rowILj256ELj32ELj512ELj137ELj64EiiEEvT5_PKS1_S3_PKT4_S3_S6_S3_S6_S3_S6_PS1_21rocsparse_index_base_S8_S8_S8_bb.num_vgpr, 20
	.set _ZN9rocsparseL35csrgemm_symbolic_fill_block_per_rowILj256ELj32ELj512ELj137ELj64EiiEEvT5_PKS1_S3_PKT4_S3_S6_S3_S6_S3_S6_PS1_21rocsparse_index_base_S8_S8_S8_bb.num_agpr, 0
	.set _ZN9rocsparseL35csrgemm_symbolic_fill_block_per_rowILj256ELj32ELj512ELj137ELj64EiiEEvT5_PKS1_S3_PKT4_S3_S6_S3_S6_S3_S6_PS1_21rocsparse_index_base_S8_S8_S8_bb.numbered_sgpr, 31
	.set _ZN9rocsparseL35csrgemm_symbolic_fill_block_per_rowILj256ELj32ELj512ELj137ELj64EiiEEvT5_PKS1_S3_PKT4_S3_S6_S3_S6_S3_S6_PS1_21rocsparse_index_base_S8_S8_S8_bb.num_named_barrier, 0
	.set _ZN9rocsparseL35csrgemm_symbolic_fill_block_per_rowILj256ELj32ELj512ELj137ELj64EiiEEvT5_PKS1_S3_PKT4_S3_S6_S3_S6_S3_S6_PS1_21rocsparse_index_base_S8_S8_S8_bb.private_seg_size, 0
	.set _ZN9rocsparseL35csrgemm_symbolic_fill_block_per_rowILj256ELj32ELj512ELj137ELj64EiiEEvT5_PKS1_S3_PKT4_S3_S6_S3_S6_S3_S6_PS1_21rocsparse_index_base_S8_S8_S8_bb.uses_vcc, 1
	.set _ZN9rocsparseL35csrgemm_symbolic_fill_block_per_rowILj256ELj32ELj512ELj137ELj64EiiEEvT5_PKS1_S3_PKT4_S3_S6_S3_S6_S3_S6_PS1_21rocsparse_index_base_S8_S8_S8_bb.uses_flat_scratch, 0
	.set _ZN9rocsparseL35csrgemm_symbolic_fill_block_per_rowILj256ELj32ELj512ELj137ELj64EiiEEvT5_PKS1_S3_PKT4_S3_S6_S3_S6_S3_S6_PS1_21rocsparse_index_base_S8_S8_S8_bb.has_dyn_sized_stack, 0
	.set _ZN9rocsparseL35csrgemm_symbolic_fill_block_per_rowILj256ELj32ELj512ELj137ELj64EiiEEvT5_PKS1_S3_PKT4_S3_S6_S3_S6_S3_S6_PS1_21rocsparse_index_base_S8_S8_S8_bb.has_recursion, 0
	.set _ZN9rocsparseL35csrgemm_symbolic_fill_block_per_rowILj256ELj32ELj512ELj137ELj64EiiEEvT5_PKS1_S3_PKT4_S3_S6_S3_S6_S3_S6_PS1_21rocsparse_index_base_S8_S8_S8_bb.has_indirect_call, 0
	.section	.AMDGPU.csdata,"",@progbits
; Kernel info:
; codeLenInByte = 2492
; TotalNumSgprs: 33
; NumVgprs: 20
; ScratchSize: 0
; MemoryBound: 0
; FloatMode: 240
; IeeeMode: 1
; LDSByteSize: 0 bytes/workgroup (compile time only)
; SGPRBlocks: 0
; VGPRBlocks: 1
; NumSGPRsForWavesPerEU: 33
; NumVGPRsForWavesPerEU: 20
; NamedBarCnt: 0
; Occupancy: 16
; WaveLimiterHint : 1
; COMPUTE_PGM_RSRC2:SCRATCH_EN: 0
; COMPUTE_PGM_RSRC2:USER_SGPR: 2
; COMPUTE_PGM_RSRC2:TRAP_HANDLER: 0
; COMPUTE_PGM_RSRC2:TGID_X_EN: 1
; COMPUTE_PGM_RSRC2:TGID_Y_EN: 0
; COMPUTE_PGM_RSRC2:TGID_Z_EN: 0
; COMPUTE_PGM_RSRC2:TIDIG_COMP_CNT: 0
	.section	.text._ZN9rocsparseL35csrgemm_symbolic_fill_block_per_rowILj512ELj32ELj1024ELj137ELj32EiiEEvT5_PKS1_S3_PKT4_S3_S6_S3_S6_S3_S6_PS1_21rocsparse_index_base_S8_S8_S8_bb,"axG",@progbits,_ZN9rocsparseL35csrgemm_symbolic_fill_block_per_rowILj512ELj32ELj1024ELj137ELj32EiiEEvT5_PKS1_S3_PKT4_S3_S6_S3_S6_S3_S6_PS1_21rocsparse_index_base_S8_S8_S8_bb,comdat
	.globl	_ZN9rocsparseL35csrgemm_symbolic_fill_block_per_rowILj512ELj32ELj1024ELj137ELj32EiiEEvT5_PKS1_S3_PKT4_S3_S6_S3_S6_S3_S6_PS1_21rocsparse_index_base_S8_S8_S8_bb ; -- Begin function _ZN9rocsparseL35csrgemm_symbolic_fill_block_per_rowILj512ELj32ELj1024ELj137ELj32EiiEEvT5_PKS1_S3_PKT4_S3_S6_S3_S6_S3_S6_PS1_21rocsparse_index_base_S8_S8_S8_bb
	.p2align	8
	.type	_ZN9rocsparseL35csrgemm_symbolic_fill_block_per_rowILj512ELj32ELj1024ELj137ELj32EiiEEvT5_PKS1_S3_PKT4_S3_S6_S3_S6_S3_S6_PS1_21rocsparse_index_base_S8_S8_S8_bb,@function
_ZN9rocsparseL35csrgemm_symbolic_fill_block_per_rowILj512ELj32ELj1024ELj137ELj32EiiEEvT5_PKS1_S3_PKT4_S3_S6_S3_S6_S3_S6_PS1_21rocsparse_index_base_S8_S8_S8_bb: ; @_ZN9rocsparseL35csrgemm_symbolic_fill_block_per_rowILj512ELj32ELj1024ELj137ELj32EiiEEvT5_PKS1_S3_PKT4_S3_S6_S3_S6_S3_S6_PS1_21rocsparse_index_base_S8_S8_S8_bb
; %bb.0:
	s_clause 0x3
	s_load_b128 s[20:23], s[0:1], 0x48
	s_load_b256 s[4:11], s[0:1], 0x28
	s_load_b32 s30, s[0:1], 0x0
	s_load_b256 s[12:19], s[0:1], 0x8
	v_lshl_add_u32 v1, v0, 2, 0
	s_mov_b32 s24, 0
	s_mov_b32 s2, 0
	s_delay_alu instid0(VALU_DEP_1)
	v_mov_b32_e32 v2, v1
	s_branch .LBB10_2
.LBB10_1:                               ;   in Loop: Header=BB10_2 Depth=1
	s_or_b32 exec_lo, exec_lo, s25
	s_add_co_i32 s2, s2, 2
	v_add_nc_u32_e32 v2, 0x1000, v2
	v_cmp_eq_u32_e64 s3, 2, s2
	s_or_b32 s24, s3, s24
	s_delay_alu instid0(SALU_CYCLE_1)
	s_and_not1_b32 exec_lo, exec_lo, s24
	s_cbranch_execz .LBB10_6
.LBB10_2:                               ; =>This Inner Loop Header: Depth=1
	s_mov_b32 s3, s2
	s_mov_b32 s25, exec_lo
	s_or_b64 s[26:27], s[2:3], 0x100000000
	s_delay_alu instid0(SALU_CYCLE_1)
	v_cmp_le_u32_e64 s3, s27, 1
	v_cmpx_le_u32_e64 s26, 1
	s_cbranch_execz .LBB10_4
; %bb.3:                                ;   in Loop: Header=BB10_2 Depth=1
	s_wait_kmcnt 0x0
	v_mov_b32_e32 v3, s30
	ds_store_b32 v2, v3
.LBB10_4:                               ;   in Loop: Header=BB10_2 Depth=1
	s_or_b32 exec_lo, exec_lo, s25
	s_and_saveexec_b32 s25, s3
	s_cbranch_execz .LBB10_1
; %bb.5:                                ;   in Loop: Header=BB10_2 Depth=1
	s_wait_kmcnt 0x0
	v_mov_b32_e32 v3, s30
	ds_store_b32 v2, v3 offset:2048
	s_branch .LBB10_1
.LBB10_6:
	s_or_b32 exec_lo, exec_lo, s24
	s_wait_dscnt 0x0
	s_barrier_signal -1
	s_barrier_wait -1
	s_wait_kmcnt 0x0
	s_load_b32 s3, s[12:13], 0x0
	s_bfe_u32 s2, ttmp6, 0x4000c
	s_wait_xcnt 0x0
	s_and_b32 s12, ttmp6, 15
	s_add_co_i32 s2, s2, 1
	s_getreg_b32 s13, hwreg(HW_REG_IB_STS2, 6, 4)
	s_mul_i32 s2, ttmp9, s2
	v_lshrrev_b32_e32 v2, 5, v0
	s_add_co_i32 s12, s12, s2
	s_cmp_eq_u32 s13, 0
	s_load_b32 s2, s[0:1], 0x68
	s_cselect_b32 s12, ttmp9, s12
	s_wait_kmcnt 0x0
	s_add_co_i32 s3, s3, s12
	s_load_b128 s[24:27], s[0:1], 0x58
	s_load_b32 s28, s[14:15], s3 offset:0x0 scale_offset
	s_bitcmp0_b32 s2, 0
	s_cbranch_scc1 .LBB10_22
; %bb.7:
	s_wait_kmcnt 0x0
	s_ashr_i32 s29, s28, 31
	v_subrev_nc_u32_e32 v3, s24, v2
	s_lshl_b64 s[0:1], s[28:29], 2
	s_delay_alu instid0(SALU_CYCLE_1)
	s_add_nc_u64 s[0:1], s[16:17], s[0:1]
	s_load_b64 s[12:13], s[0:1], 0x0
	s_wait_xcnt 0x0
	s_mov_b32 s1, exec_lo
	s_wait_kmcnt 0x0
	v_add_nc_u32_e32 v3, s12, v3
	s_sub_co_i32 s0, s13, s24
	s_delay_alu instid0(VALU_DEP_1) | instid1(SALU_CYCLE_1)
	v_cmpx_gt_i32_e64 s0, v3
	s_cbranch_execz .LBB10_21
; %bb.8:
	v_and_b32_e32 v4, 31, v0
	s_mov_b32 s3, 0
	s_delay_alu instid0(VALU_DEP_1)
	v_subrev_nc_u32_e32 v4, s25, v4
	s_branch .LBB10_10
.LBB10_9:                               ;   in Loop: Header=BB10_10 Depth=1
	s_or_b32 exec_lo, exec_lo, s12
	v_add_nc_u32_e32 v3, 16, v3
	s_delay_alu instid0(VALU_DEP_1) | instskip(SKIP_1) | instid1(SALU_CYCLE_1)
	v_cmp_le_i32_e32 vcc_lo, s0, v3
	s_or_b32 s3, vcc_lo, s3
	s_and_not1_b32 exec_lo, exec_lo, s3
	s_cbranch_execz .LBB10_21
.LBB10_10:                              ; =>This Loop Header: Depth=1
                                        ;     Child Loop BB10_13 Depth 2
                                        ;       Child Loop BB10_16 Depth 3
	global_load_b32 v5, v3, s[18:19] scale_offset
	s_mov_b32 s12, exec_lo
	s_wait_loadcnt 0x0
	v_subrev_nc_u32_e32 v6, s24, v5
	s_delay_alu instid0(VALU_DEP_1) | instskip(NEXT) | instid1(VALU_DEP_1)
	v_ashrrev_i32_e32 v7, 31, v6
	v_lshl_add_u64 v[6:7], v[6:7], 2, s[4:5]
	global_load_b64 v[6:7], v[6:7], off
	s_wait_loadcnt 0x0
	v_subrev_nc_u32_e32 v5, s25, v7
	v_add_nc_u32_e32 v6, v6, v4
	s_delay_alu instid0(VALU_DEP_1)
	v_cmpx_lt_i32_e64 v6, v5
	s_cbranch_execz .LBB10_9
; %bb.11:                               ;   in Loop: Header=BB10_10 Depth=1
	s_mov_b32 s13, 0
	s_branch .LBB10_13
.LBB10_12:                              ;   in Loop: Header=BB10_13 Depth=2
	s_or_b32 exec_lo, exec_lo, s14
	v_add_nc_u32_e32 v6, 32, v6
	s_delay_alu instid0(VALU_DEP_1) | instskip(SKIP_1) | instid1(SALU_CYCLE_1)
	v_cmp_ge_i32_e32 vcc_lo, v6, v5
	s_or_b32 s13, vcc_lo, s13
	s_and_not1_b32 exec_lo, exec_lo, s13
	s_cbranch_execz .LBB10_9
.LBB10_13:                              ;   Parent Loop BB10_10 Depth=1
                                        ; =>  This Loop Header: Depth=2
                                        ;       Child Loop BB10_16 Depth 3
	global_load_b32 v7, v6, s[6:7] scale_offset
	s_mov_b32 s14, 0
                                        ; implicit-def: $sgpr15
	s_wait_loadcnt 0x0
	v_subrev_nc_u32_e32 v7, s25, v7
	s_delay_alu instid0(VALU_DEP_1) | instskip(NEXT) | instid1(VALU_DEP_1)
	v_mul_lo_u32 v8, 0x89, v7
	v_and_b32_e32 v8, 0x3ff, v8
	s_branch .LBB10_16
.LBB10_14:                              ;   in Loop: Header=BB10_16 Depth=3
	s_or_b32 exec_lo, exec_lo, s17
	s_delay_alu instid0(SALU_CYCLE_1) | instskip(SKIP_1) | instid1(SALU_CYCLE_1)
	s_and_not1_b32 s15, s15, exec_lo
	s_and_b32 s17, s29, exec_lo
	s_or_b32 s15, s15, s17
.LBB10_15:                              ;   in Loop: Header=BB10_16 Depth=3
	s_or_b32 exec_lo, exec_lo, s16
	s_xor_b32 s16, s15, -1
	s_delay_alu instid0(SALU_CYCLE_1) | instskip(NEXT) | instid1(SALU_CYCLE_1)
	s_and_b32 s16, exec_lo, s16
	s_or_b32 s14, s16, s14
	s_delay_alu instid0(SALU_CYCLE_1)
	s_and_not1_b32 exec_lo, exec_lo, s14
	s_cbranch_execz .LBB10_12
.LBB10_16:                              ;   Parent Loop BB10_10 Depth=1
                                        ;     Parent Loop BB10_13 Depth=2
                                        ; =>    This Inner Loop Header: Depth=3
	s_delay_alu instid0(VALU_DEP_1)
	v_lshl_add_u32 v9, v8, 2, 0
	s_and_not1_b32 s15, s15, exec_lo
	s_mov_b32 s16, exec_lo
	ds_load_b32 v10, v9
	s_wait_dscnt 0x0
	v_cmpx_ne_u32_e64 v10, v7
	s_cbranch_execz .LBB10_15
; %bb.17:                               ;   in Loop: Header=BB10_16 Depth=3
	s_mov_b32 s17, exec_lo
	v_cmpx_ne_u32_e64 s30, v10
	s_xor_b32 s17, exec_lo, s17
; %bb.18:                               ;   in Loop: Header=BB10_16 Depth=3
	v_add_nc_u32_e32 v8, 1, v8
                                        ; implicit-def: $vgpr9
	s_delay_alu instid0(VALU_DEP_1)
	v_and_b32_e32 v8, 0x3ff, v8
; %bb.19:                               ;   in Loop: Header=BB10_16 Depth=3
	s_or_saveexec_b32 s17, s17
	s_mov_b32 s29, -1
	s_xor_b32 exec_lo, exec_lo, s17
	s_cbranch_execz .LBB10_14
; %bb.20:                               ;   in Loop: Header=BB10_16 Depth=3
	v_mov_b32_e32 v10, s30
	ds_cmpstore_rtn_b32 v9, v9, v7, v10
	s_wait_dscnt 0x0
	v_cmp_ne_u32_e32 vcc_lo, s30, v9
	s_or_not1_b32 s29, vcc_lo, exec_lo
	s_branch .LBB10_14
.LBB10_21:
	s_or_b32 exec_lo, exec_lo, s1
.LBB10_22:
	s_wait_xcnt 0x0
	s_bfe_u32 s0, s2, 0x10008
	s_delay_alu instid0(SALU_CYCLE_1)
	s_cmp_eq_u32 s0, 0
	s_cbranch_scc1 .LBB10_35
; %bb.23:
	s_wait_kmcnt 0x0
	s_ashr_i32 s29, s28, 31
	v_subrev_nc_u32_e32 v3, s27, v0
	s_lshl_b64 s[0:1], s[28:29], 2
	s_delay_alu instid0(SALU_CYCLE_1)
	s_add_nc_u64 s[0:1], s[8:9], s[0:1]
	s_load_b64 s[2:3], s[0:1], 0x0
	s_wait_xcnt 0x0
	s_mov_b32 s1, exec_lo
	s_wait_kmcnt 0x0
	v_add_nc_u32_e32 v3, s2, v3
	s_sub_co_i32 s0, s3, s27
	s_delay_alu instid0(VALU_DEP_1) | instid1(SALU_CYCLE_1)
	v_cmpx_gt_i32_e64 s0, v3
	s_cbranch_execz .LBB10_34
; %bb.24:
	s_mov_b32 s2, 0
	s_branch .LBB10_26
.LBB10_25:                              ;   in Loop: Header=BB10_26 Depth=1
	s_or_b32 exec_lo, exec_lo, s3
	v_add_nc_u32_e32 v3, 0x200, v3
	s_delay_alu instid0(VALU_DEP_1) | instskip(SKIP_1) | instid1(SALU_CYCLE_1)
	v_cmp_le_i32_e32 vcc_lo, s0, v3
	s_or_b32 s2, vcc_lo, s2
	s_and_not1_b32 exec_lo, exec_lo, s2
	s_cbranch_execz .LBB10_34
.LBB10_26:                              ; =>This Loop Header: Depth=1
                                        ;     Child Loop BB10_29 Depth 2
	global_load_b32 v4, v3, s[10:11] scale_offset
	s_mov_b32 s3, 0
                                        ; implicit-def: $sgpr4
	s_wait_loadcnt 0x0
	v_subrev_nc_u32_e32 v4, s27, v4
	s_delay_alu instid0(VALU_DEP_1) | instskip(NEXT) | instid1(VALU_DEP_1)
	v_mul_lo_u32 v5, 0x89, v4
	v_and_b32_e32 v5, 0x3ff, v5
	s_branch .LBB10_29
.LBB10_27:                              ;   in Loop: Header=BB10_29 Depth=2
	s_or_b32 exec_lo, exec_lo, s6
	s_delay_alu instid0(SALU_CYCLE_1) | instskip(SKIP_1) | instid1(SALU_CYCLE_1)
	s_and_not1_b32 s4, s4, exec_lo
	s_and_b32 s6, s7, exec_lo
	s_or_b32 s4, s4, s6
.LBB10_28:                              ;   in Loop: Header=BB10_29 Depth=2
	s_or_b32 exec_lo, exec_lo, s5
	s_xor_b32 s5, s4, -1
	s_delay_alu instid0(SALU_CYCLE_1) | instskip(NEXT) | instid1(SALU_CYCLE_1)
	s_and_b32 s5, exec_lo, s5
	s_or_b32 s3, s5, s3
	s_delay_alu instid0(SALU_CYCLE_1)
	s_and_not1_b32 exec_lo, exec_lo, s3
	s_cbranch_execz .LBB10_25
.LBB10_29:                              ;   Parent Loop BB10_26 Depth=1
                                        ; =>  This Inner Loop Header: Depth=2
	s_delay_alu instid0(VALU_DEP_1)
	v_lshl_add_u32 v6, v5, 2, 0
	s_and_not1_b32 s4, s4, exec_lo
	s_mov_b32 s5, exec_lo
	ds_load_b32 v7, v6
	s_wait_dscnt 0x0
	v_cmpx_ne_u32_e64 v7, v4
	s_cbranch_execz .LBB10_28
; %bb.30:                               ;   in Loop: Header=BB10_29 Depth=2
	s_mov_b32 s6, exec_lo
	v_cmpx_ne_u32_e64 s30, v7
	s_xor_b32 s6, exec_lo, s6
; %bb.31:                               ;   in Loop: Header=BB10_29 Depth=2
	v_add_nc_u32_e32 v5, 1, v5
                                        ; implicit-def: $vgpr6
	s_delay_alu instid0(VALU_DEP_1)
	v_and_b32_e32 v5, 0x3ff, v5
; %bb.32:                               ;   in Loop: Header=BB10_29 Depth=2
	s_or_saveexec_b32 s6, s6
	s_mov_b32 s7, -1
	s_xor_b32 exec_lo, exec_lo, s6
	s_cbranch_execz .LBB10_27
; %bb.33:                               ;   in Loop: Header=BB10_29 Depth=2
	v_mov_b32_e32 v7, s30
	ds_cmpstore_rtn_b32 v6, v6, v4, v7
	s_wait_dscnt 0x0
	v_cmp_ne_u32_e32 vcc_lo, s30, v6
	s_or_not1_b32 s7, vcc_lo, exec_lo
	s_branch .LBB10_27
.LBB10_34:
	s_or_b32 exec_lo, exec_lo, s1
.LBB10_35:
	v_mbcnt_lo_u32_b32 v5, -1, 0
	v_mov_b32_e32 v3, 0
	v_lshl_add_u32 v4, v2, 2, 0
	v_cmp_lt_u32_e64 s0, 31, v0
	v_cmp_lt_u32_e64 s1, 63, v0
	v_xor_b32_e32 v2, 31, v5
	v_cmp_lt_u32_e64 s2, 0x5f, v0
	v_cmp_lt_u32_e64 s3, 0x7f, v0
	;; [unrolled: 1-line block ×4, first 2 shown]
	v_lshrrev_b32_e64 v2, v2, -1
	v_cmp_lt_u32_e64 s6, 0xdf, v0
	v_cmp_lt_u32_e64 s7, 0xff, v0
	;; [unrolled: 1-line block ×9, first 2 shown]
	v_or_b32_e32 v5, 0xfffffe00, v0
	v_mov_b32_e32 v6, 0
	s_mov_b32 s16, 0
	v_cmp_eq_u32_e32 vcc_lo, 0x1ff, v0
	s_barrier_signal -1
	s_barrier_wait -1
	s_branch .LBB10_37
.LBB10_36:                              ;   in Loop: Header=BB10_37 Depth=1
	s_or_b32 exec_lo, exec_lo, s15
	s_wait_dscnt 0x0
	s_barrier_signal -1
	s_barrier_wait -1
	ds_load_b32 v7, v3 offset:4156
	v_add_co_u32 v5, s15, 0x200, v5
	s_xor_b32 s15, s15, -1
	v_add_nc_u32_e32 v1, 0x800, v1
	s_and_b32 s15, exec_lo, s15
	s_delay_alu instid0(SALU_CYCLE_1)
	s_or_b32 s16, s15, s16
	s_wait_dscnt 0x0
	v_add_nc_u32_e32 v6, v7, v6
	s_and_not1_b32 exec_lo, exec_lo, s16
	s_cbranch_execz .LBB10_71
.LBB10_37:                              ; =>This Inner Loop Header: Depth=1
	ds_load_b32 v7, v1
	s_wait_dscnt 0x0
	s_barrier_signal -1
	s_barrier_wait -1
	v_cmp_gt_i32_e64 s15, s30, v7
	s_bcnt1_i32_b32 s17, s15
	s_delay_alu instid0(SALU_CYCLE_1) | instskip(NEXT) | instid1(VALU_DEP_1)
	v_dual_mov_b32 v9, s17 :: v_dual_bitop2_b32 v8, s15, v2 bitop3:0x40
	v_bcnt_u32_b32 v8, v8, 0
	ds_store_b32 v4, v9 offset:4096
	s_wait_dscnt 0x0
	s_barrier_signal -1
	s_barrier_wait -1
	s_and_saveexec_b32 s17, s0
	s_cbranch_execnz .LBB10_54
; %bb.38:                               ;   in Loop: Header=BB10_37 Depth=1
	s_or_b32 exec_lo, exec_lo, s17
	s_and_saveexec_b32 s17, s1
	s_cbranch_execnz .LBB10_55
.LBB10_39:                              ;   in Loop: Header=BB10_37 Depth=1
	s_or_b32 exec_lo, exec_lo, s17
	s_and_saveexec_b32 s17, s2
	s_cbranch_execnz .LBB10_56
.LBB10_40:                              ;   in Loop: Header=BB10_37 Depth=1
	s_or_b32 exec_lo, exec_lo, s17
	s_and_saveexec_b32 s17, s3
	s_cbranch_execnz .LBB10_57
.LBB10_41:                              ;   in Loop: Header=BB10_37 Depth=1
	s_or_b32 exec_lo, exec_lo, s17
	s_and_saveexec_b32 s17, s4
	s_cbranch_execnz .LBB10_58
.LBB10_42:                              ;   in Loop: Header=BB10_37 Depth=1
	s_or_b32 exec_lo, exec_lo, s17
	s_and_saveexec_b32 s17, s5
	s_cbranch_execnz .LBB10_59
.LBB10_43:                              ;   in Loop: Header=BB10_37 Depth=1
	s_or_b32 exec_lo, exec_lo, s17
	s_and_saveexec_b32 s17, s6
	s_cbranch_execnz .LBB10_60
.LBB10_44:                              ;   in Loop: Header=BB10_37 Depth=1
	s_or_b32 exec_lo, exec_lo, s17
	s_and_saveexec_b32 s17, s7
	s_cbranch_execnz .LBB10_61
.LBB10_45:                              ;   in Loop: Header=BB10_37 Depth=1
	s_or_b32 exec_lo, exec_lo, s17
	s_and_saveexec_b32 s17, s8
	s_cbranch_execnz .LBB10_62
.LBB10_46:                              ;   in Loop: Header=BB10_37 Depth=1
	s_or_b32 exec_lo, exec_lo, s17
	s_and_saveexec_b32 s17, s9
	s_cbranch_execnz .LBB10_63
.LBB10_47:                              ;   in Loop: Header=BB10_37 Depth=1
	s_or_b32 exec_lo, exec_lo, s17
	s_and_saveexec_b32 s17, s10
	s_cbranch_execnz .LBB10_64
.LBB10_48:                              ;   in Loop: Header=BB10_37 Depth=1
	s_or_b32 exec_lo, exec_lo, s17
	s_and_saveexec_b32 s17, s11
	s_cbranch_execnz .LBB10_65
.LBB10_49:                              ;   in Loop: Header=BB10_37 Depth=1
	s_or_b32 exec_lo, exec_lo, s17
	s_and_saveexec_b32 s17, s12
	s_cbranch_execnz .LBB10_66
.LBB10_50:                              ;   in Loop: Header=BB10_37 Depth=1
	s_or_b32 exec_lo, exec_lo, s17
	s_and_saveexec_b32 s17, s13
	s_cbranch_execnz .LBB10_67
.LBB10_51:                              ;   in Loop: Header=BB10_37 Depth=1
	s_or_b32 exec_lo, exec_lo, s17
	s_and_saveexec_b32 s17, s14
	s_cbranch_execnz .LBB10_68
.LBB10_52:                              ;   in Loop: Header=BB10_37 Depth=1
	s_or_b32 exec_lo, exec_lo, s17
	s_and_saveexec_b32 s17, s15
	s_cbranch_execnz .LBB10_69
.LBB10_53:                              ;   in Loop: Header=BB10_37 Depth=1
	s_or_b32 exec_lo, exec_lo, s17
	s_and_saveexec_b32 s15, vcc_lo
	s_cbranch_execz .LBB10_36
	s_branch .LBB10_70
.LBB10_54:                              ;   in Loop: Header=BB10_37 Depth=1
	ds_load_b32 v9, v3 offset:4096
	s_wait_dscnt 0x0
	v_add_nc_u32_e32 v8, v9, v8
	s_or_b32 exec_lo, exec_lo, s17
	s_and_saveexec_b32 s17, s1
	s_cbranch_execz .LBB10_39
.LBB10_55:                              ;   in Loop: Header=BB10_37 Depth=1
	ds_load_b32 v9, v3 offset:4100
	s_wait_dscnt 0x0
	v_add_nc_u32_e32 v8, v9, v8
	s_or_b32 exec_lo, exec_lo, s17
	s_and_saveexec_b32 s17, s2
	s_cbranch_execz .LBB10_40
.LBB10_56:                              ;   in Loop: Header=BB10_37 Depth=1
	ds_load_b32 v9, v3 offset:4104
	s_wait_dscnt 0x0
	v_add_nc_u32_e32 v8, v9, v8
	s_or_b32 exec_lo, exec_lo, s17
	s_and_saveexec_b32 s17, s3
	s_cbranch_execz .LBB10_41
.LBB10_57:                              ;   in Loop: Header=BB10_37 Depth=1
	ds_load_b32 v9, v3 offset:4108
	s_wait_dscnt 0x0
	v_add_nc_u32_e32 v8, v9, v8
	s_or_b32 exec_lo, exec_lo, s17
	s_and_saveexec_b32 s17, s4
	s_cbranch_execz .LBB10_42
.LBB10_58:                              ;   in Loop: Header=BB10_37 Depth=1
	ds_load_b32 v9, v3 offset:4112
	s_wait_dscnt 0x0
	v_add_nc_u32_e32 v8, v9, v8
	s_or_b32 exec_lo, exec_lo, s17
	s_and_saveexec_b32 s17, s5
	s_cbranch_execz .LBB10_43
.LBB10_59:                              ;   in Loop: Header=BB10_37 Depth=1
	ds_load_b32 v9, v3 offset:4116
	s_wait_dscnt 0x0
	v_add_nc_u32_e32 v8, v9, v8
	s_or_b32 exec_lo, exec_lo, s17
	s_and_saveexec_b32 s17, s6
	s_cbranch_execz .LBB10_44
.LBB10_60:                              ;   in Loop: Header=BB10_37 Depth=1
	ds_load_b32 v9, v3 offset:4120
	s_wait_dscnt 0x0
	v_add_nc_u32_e32 v8, v9, v8
	s_or_b32 exec_lo, exec_lo, s17
	s_and_saveexec_b32 s17, s7
	s_cbranch_execz .LBB10_45
.LBB10_61:                              ;   in Loop: Header=BB10_37 Depth=1
	ds_load_b32 v9, v3 offset:4124
	s_wait_dscnt 0x0
	v_add_nc_u32_e32 v8, v9, v8
	s_or_b32 exec_lo, exec_lo, s17
	s_and_saveexec_b32 s17, s8
	s_cbranch_execz .LBB10_46
.LBB10_62:                              ;   in Loop: Header=BB10_37 Depth=1
	ds_load_b32 v9, v3 offset:4128
	s_wait_dscnt 0x0
	v_add_nc_u32_e32 v8, v9, v8
	s_or_b32 exec_lo, exec_lo, s17
	s_and_saveexec_b32 s17, s9
	s_cbranch_execz .LBB10_47
.LBB10_63:                              ;   in Loop: Header=BB10_37 Depth=1
	ds_load_b32 v9, v3 offset:4132
	s_wait_dscnt 0x0
	v_add_nc_u32_e32 v8, v9, v8
	s_or_b32 exec_lo, exec_lo, s17
	s_and_saveexec_b32 s17, s10
	s_cbranch_execz .LBB10_48
.LBB10_64:                              ;   in Loop: Header=BB10_37 Depth=1
	ds_load_b32 v9, v3 offset:4136
	s_wait_dscnt 0x0
	v_add_nc_u32_e32 v8, v9, v8
	s_or_b32 exec_lo, exec_lo, s17
	s_and_saveexec_b32 s17, s11
	s_cbranch_execz .LBB10_49
.LBB10_65:                              ;   in Loop: Header=BB10_37 Depth=1
	ds_load_b32 v9, v3 offset:4140
	s_wait_dscnt 0x0
	v_add_nc_u32_e32 v8, v9, v8
	s_or_b32 exec_lo, exec_lo, s17
	s_and_saveexec_b32 s17, s12
	s_cbranch_execz .LBB10_50
.LBB10_66:                              ;   in Loop: Header=BB10_37 Depth=1
	ds_load_b32 v9, v3 offset:4144
	s_wait_dscnt 0x0
	v_add_nc_u32_e32 v8, v9, v8
	s_or_b32 exec_lo, exec_lo, s17
	s_and_saveexec_b32 s17, s13
	s_cbranch_execz .LBB10_51
.LBB10_67:                              ;   in Loop: Header=BB10_37 Depth=1
	ds_load_b32 v9, v3 offset:4148
	s_wait_dscnt 0x0
	v_add_nc_u32_e32 v8, v9, v8
	s_or_b32 exec_lo, exec_lo, s17
	s_and_saveexec_b32 s17, s14
	s_cbranch_execz .LBB10_52
.LBB10_68:                              ;   in Loop: Header=BB10_37 Depth=1
	ds_load_b32 v9, v3 offset:4152
	s_wait_dscnt 0x0
	v_add_nc_u32_e32 v8, v9, v8
	s_or_b32 exec_lo, exec_lo, s17
	s_and_saveexec_b32 s17, s15
	s_cbranch_execz .LBB10_53
.LBB10_69:                              ;   in Loop: Header=BB10_37 Depth=1
	s_delay_alu instid0(VALU_DEP_1) | instskip(NEXT) | instid1(VALU_DEP_1)
	v_dual_lshlrev_b32 v9, 2, v6 :: v_dual_lshlrev_b32 v10, 2, v8
	v_add_nc_u32_e32 v9, 0, v9
	s_delay_alu instid0(VALU_DEP_1)
	v_add3_u32 v9, v9, v10, -4
	ds_store_b32 v9, v7
	s_or_b32 exec_lo, exec_lo, s17
	s_and_saveexec_b32 s15, vcc_lo
	s_cbranch_execz .LBB10_36
.LBB10_70:                              ;   in Loop: Header=BB10_37 Depth=1
	ds_store_b32 v3, v8 offset:4156
	s_branch .LBB10_36
.LBB10_71:
	s_or_b32 exec_lo, exec_lo, s16
	s_wait_kmcnt 0x0
	s_ashr_i32 s29, s28, 31
	s_delay_alu instid0(SALU_CYCLE_1) | instskip(NEXT) | instid1(SALU_CYCLE_1)
	s_lshl_b64 s[0:1], s[28:29], 2
	s_add_nc_u64 s[2:3], s[20:21], s[0:1]
	s_load_b64 s[0:1], s[2:3], 0x0
	s_wait_kmcnt 0x0
	s_sub_co_i32 s4, s1, s0
	s_mov_b32 s1, exec_lo
	v_cmpx_gt_i32_e64 s4, v0
	s_cbranch_execz .LBB10_85
; %bb.72:
	v_sub_co_u32 v1, s1, s4, 2
	s_sub_co_i32 s2, s0, s26
	s_xor_b32 s6, s1, -1
	s_and_b32 s5, s4, -2
	v_readfirstlane_b32 s3, v1
	s_lshr_b32 s0, s3, 1
	s_mov_b32 s3, 0
	s_add_co_i32 s0, s0, 1
	s_mov_b32 s11, s3
	s_and_b32 s1, s0, 7
	s_and_b32 s7, s0, -8
	s_cmp_lg_u32 s1, 0
	v_cmp_lt_u32_e64 s0, 13, v1
	s_cselect_b32 s8, -1, 0
	s_cmp_lg_u32 s4, s5
	s_cselect_b32 s9, -1, 0
	s_lshl_b32 s10, s1, 3
	s_branch .LBB10_74
.LBB10_73:                              ;   in Loop: Header=BB10_74 Depth=1
	v_add_nc_u32_e32 v0, 0x200, v0
	s_wait_dscnt 0x0
	v_add_nc_u32_e32 v1, s26, v1
	s_delay_alu instid0(VALU_DEP_2)
	v_cmp_le_i32_e32 vcc_lo, s4, v0
	global_store_b32 v2, v1, s[22:23] scale_offset
	s_or_b32 s11, vcc_lo, s11
	s_wait_xcnt 0x0
	s_and_not1_b32 exec_lo, exec_lo, s11
	s_cbranch_execz .LBB10_85
.LBB10_74:                              ; =>This Loop Header: Depth=1
                                        ;     Child Loop BB10_77 Depth 2
                                        ;     Child Loop BB10_80 Depth 2
	;; [unrolled: 1-line block ×3, first 2 shown]
	v_lshl_add_u32 v1, v0, 2, 0
	v_mov_b32_e32 v2, s2
	s_and_not1_b32 vcc_lo, exec_lo, s6
	s_mov_b32 s1, 0
	s_mov_b32 s12, -1
	ds_load_b32 v1, v1
	s_cbranch_vccnz .LBB10_82
; %bb.75:                               ;   in Loop: Header=BB10_74 Depth=1
	v_mov_b64_e32 v[2:3], s[2:3]
	s_and_not1_b32 vcc_lo, exec_lo, s0
	s_mov_b32 s12, 0
	s_cbranch_vccnz .LBB10_78
; %bb.76:                               ;   in Loop: Header=BB10_74 Depth=1
	v_dual_mov_b32 v2, s2 :: v_dual_mov_b32 v3, 0
	s_mov_b32 s13, 0
	s_mov_b32 s14, s7
.LBB10_77:                              ;   Parent Loop BB10_74 Depth=1
                                        ; =>  This Inner Loop Header: Depth=2
	v_mov_b32_e32 v18, s13
	s_add_co_i32 s14, s14, -8
	s_add_co_i32 s12, s12, 16
	s_add_co_i32 s13, s13, 64
	s_cmp_lg_u32 s14, 0
	ds_load_2addr_b32 v[4:5], v18 offset1:1
	ds_load_2addr_b32 v[6:7], v18 offset0:2 offset1:3
	ds_load_2addr_b32 v[8:9], v18 offset0:4 offset1:5
	ds_load_2addr_b32 v[10:11], v18 offset0:8 offset1:9
	ds_load_2addr_b32 v[12:13], v18 offset0:12 offset1:13
	ds_load_2addr_b32 v[14:15], v18 offset0:6 offset1:7
	ds_load_2addr_b32 v[16:17], v18 offset0:10 offset1:11
	ds_load_2addr_b32 v[18:19], v18 offset0:14 offset1:15
	s_wait_dscnt 0x7
	v_cmp_gt_i32_e32 vcc_lo, v1, v5
	s_wait_dscnt 0x5
	v_cmp_gt_i32_e64 s1, v1, v8
	v_cndmask_b32_e64 v5, 0, 1, vcc_lo
	v_cmp_gt_i32_e32 vcc_lo, v1, v4
	v_cndmask_b32_e64 v4, 0, 1, vcc_lo
	v_cmp_gt_i32_e32 vcc_lo, v1, v6
	v_cndmask_b32_e64 v6, 0, 1, s1
	v_cmp_gt_i32_e64 s1, v1, v9
	s_delay_alu instid0(VALU_DEP_4) | instskip(NEXT) | instid1(VALU_DEP_2)
	v_add_co_ci_u32_e64 v2, null, v2, v4, vcc_lo
	v_cndmask_b32_e64 v8, 0, 1, s1
	s_wait_dscnt 0x4
	v_cmp_gt_i32_e64 s1, v1, v11
	s_wait_dscnt 0x2
	v_cmp_gt_i32_e32 vcc_lo, v1, v14
	s_delay_alu instid0(VALU_DEP_2) | instskip(SKIP_4) | instid1(VALU_DEP_3)
	v_cndmask_b32_e64 v9, 0, 1, s1
	v_cmp_gt_i32_e64 s1, v1, v10
	v_add_co_ci_u32_e64 v2, null, v2, v6, vcc_lo
	s_wait_dscnt 0x1
	v_cmp_gt_i32_e32 vcc_lo, v1, v16
	v_cndmask_b32_e64 v10, 0, 1, s1
	v_cmp_gt_i32_e64 s1, v1, v12
	s_delay_alu instid0(VALU_DEP_2) | instskip(NEXT) | instid1(VALU_DEP_2)
	v_add_co_ci_u32_e64 v2, null, v2, v10, vcc_lo
	v_cndmask_b32_e64 v11, 0, 1, s1
	v_cmp_gt_i32_e64 s1, v1, v13
	s_wait_dscnt 0x0
	v_cmp_gt_i32_e32 vcc_lo, v1, v18
	s_delay_alu instid0(VALU_DEP_2) | instskip(SKIP_2) | instid1(VALU_DEP_2)
	v_cndmask_b32_e64 v12, 0, 1, s1
	v_cmp_gt_i32_e64 s1, v1, v7
	v_add_co_ci_u32_e64 v2, null, v2, v11, vcc_lo
	v_add_co_ci_u32_e64 v3, null, v3, v5, s1
	v_cmp_gt_i32_e64 s1, v1, v15
	s_delay_alu instid0(VALU_DEP_1) | instskip(SKIP_1) | instid1(VALU_DEP_1)
	v_add_co_ci_u32_e64 v3, null, v3, v8, s1
	v_cmp_gt_i32_e64 s1, v1, v17
	v_add_co_ci_u32_e64 v3, null, v3, v9, s1
	v_cmp_gt_i32_e64 s1, v1, v19
	s_delay_alu instid0(VALU_DEP_1)
	v_add_co_ci_u32_e64 v3, null, v3, v12, s1
	s_cbranch_scc1 .LBB10_77
.LBB10_78:                              ;   in Loop: Header=BB10_74 Depth=1
	s_and_not1_b32 vcc_lo, exec_lo, s8
	s_cbranch_vccnz .LBB10_81
; %bb.79:                               ;   in Loop: Header=BB10_74 Depth=1
	s_lshl_b32 s1, s12, 2
	s_mov_b32 s12, s10
	s_add_co_i32 s1, s1, 0
.LBB10_80:                              ;   Parent Loop BB10_74 Depth=1
                                        ; =>  This Inner Loop Header: Depth=2
	s_delay_alu instid0(SALU_CYCLE_1)
	v_mov_b32_e32 v4, s1
	s_add_co_i32 s12, s12, -8
	s_add_co_i32 s1, s1, 8
	s_cmp_lg_u32 s12, 0
	ds_load_2addr_b32 v[4:5], v4 offset1:1
	s_wait_dscnt 0x0
	v_cmp_gt_i32_e32 vcc_lo, v1, v5
	v_add_co_ci_u32_e64 v3, null, 0, v3, vcc_lo
	v_cmp_gt_i32_e32 vcc_lo, v1, v4
	v_add_co_ci_u32_e64 v2, null, 0, v2, vcc_lo
	s_cbranch_scc1 .LBB10_80
.LBB10_81:                              ;   in Loop: Header=BB10_74 Depth=1
	s_delay_alu instid0(VALU_DEP_1)
	v_add_nc_u32_e32 v2, v2, v3
	s_mov_b32 s1, s5
	s_mov_b32 s12, s9
.LBB10_82:                              ;   in Loop: Header=BB10_74 Depth=1
	s_delay_alu instid0(SALU_CYCLE_1)
	s_and_b32 vcc_lo, exec_lo, s12
	s_cbranch_vccz .LBB10_73
; %bb.83:                               ;   in Loop: Header=BB10_74 Depth=1
	s_lshl_b32 s12, s1, 2
	s_delay_alu instid0(SALU_CYCLE_1)
	s_add_co_i32 s12, s12, 0
.LBB10_84:                              ;   Parent Loop BB10_74 Depth=1
                                        ; =>  This Inner Loop Header: Depth=2
	s_delay_alu instid0(SALU_CYCLE_1)
	v_mov_b32_e32 v3, s12
	s_add_co_i32 s1, s1, 1
	s_add_co_i32 s12, s12, 4
	s_cmp_ge_i32 s1, s4
	ds_load_b32 v3, v3
	s_wait_dscnt 0x0
	v_cmp_gt_i32_e32 vcc_lo, v1, v3
	v_add_co_ci_u32_e64 v2, null, 0, v2, vcc_lo
	s_cbranch_scc0 .LBB10_84
	s_branch .LBB10_73
.LBB10_85:
	s_endpgm
	.section	.rodata,"a",@progbits
	.p2align	6, 0x0
	.amdhsa_kernel _ZN9rocsparseL35csrgemm_symbolic_fill_block_per_rowILj512ELj32ELj1024ELj137ELj32EiiEEvT5_PKS1_S3_PKT4_S3_S6_S3_S6_S3_S6_PS1_21rocsparse_index_base_S8_S8_S8_bb
		.amdhsa_group_segment_fixed_size 0
		.amdhsa_private_segment_fixed_size 0
		.amdhsa_kernarg_size 108
		.amdhsa_user_sgpr_count 2
		.amdhsa_user_sgpr_dispatch_ptr 0
		.amdhsa_user_sgpr_queue_ptr 0
		.amdhsa_user_sgpr_kernarg_segment_ptr 1
		.amdhsa_user_sgpr_dispatch_id 0
		.amdhsa_user_sgpr_kernarg_preload_length 0
		.amdhsa_user_sgpr_kernarg_preload_offset 0
		.amdhsa_user_sgpr_private_segment_size 0
		.amdhsa_wavefront_size32 1
		.amdhsa_uses_dynamic_stack 0
		.amdhsa_enable_private_segment 0
		.amdhsa_system_sgpr_workgroup_id_x 1
		.amdhsa_system_sgpr_workgroup_id_y 0
		.amdhsa_system_sgpr_workgroup_id_z 0
		.amdhsa_system_sgpr_workgroup_info 0
		.amdhsa_system_vgpr_workitem_id 0
		.amdhsa_next_free_vgpr 20
		.amdhsa_next_free_sgpr 31
		.amdhsa_named_barrier_count 0
		.amdhsa_reserve_vcc 1
		.amdhsa_float_round_mode_32 0
		.amdhsa_float_round_mode_16_64 0
		.amdhsa_float_denorm_mode_32 3
		.amdhsa_float_denorm_mode_16_64 3
		.amdhsa_fp16_overflow 0
		.amdhsa_memory_ordered 1
		.amdhsa_forward_progress 1
		.amdhsa_inst_pref_size 24
		.amdhsa_round_robin_scheduling 0
		.amdhsa_exception_fp_ieee_invalid_op 0
		.amdhsa_exception_fp_denorm_src 0
		.amdhsa_exception_fp_ieee_div_zero 0
		.amdhsa_exception_fp_ieee_overflow 0
		.amdhsa_exception_fp_ieee_underflow 0
		.amdhsa_exception_fp_ieee_inexact 0
		.amdhsa_exception_int_div_zero 0
	.end_amdhsa_kernel
	.section	.text._ZN9rocsparseL35csrgemm_symbolic_fill_block_per_rowILj512ELj32ELj1024ELj137ELj32EiiEEvT5_PKS1_S3_PKT4_S3_S6_S3_S6_S3_S6_PS1_21rocsparse_index_base_S8_S8_S8_bb,"axG",@progbits,_ZN9rocsparseL35csrgemm_symbolic_fill_block_per_rowILj512ELj32ELj1024ELj137ELj32EiiEEvT5_PKS1_S3_PKT4_S3_S6_S3_S6_S3_S6_PS1_21rocsparse_index_base_S8_S8_S8_bb,comdat
.Lfunc_end10:
	.size	_ZN9rocsparseL35csrgemm_symbolic_fill_block_per_rowILj512ELj32ELj1024ELj137ELj32EiiEEvT5_PKS1_S3_PKT4_S3_S6_S3_S6_S3_S6_PS1_21rocsparse_index_base_S8_S8_S8_bb, .Lfunc_end10-_ZN9rocsparseL35csrgemm_symbolic_fill_block_per_rowILj512ELj32ELj1024ELj137ELj32EiiEEvT5_PKS1_S3_PKT4_S3_S6_S3_S6_S3_S6_PS1_21rocsparse_index_base_S8_S8_S8_bb
                                        ; -- End function
	.set _ZN9rocsparseL35csrgemm_symbolic_fill_block_per_rowILj512ELj32ELj1024ELj137ELj32EiiEEvT5_PKS1_S3_PKT4_S3_S6_S3_S6_S3_S6_PS1_21rocsparse_index_base_S8_S8_S8_bb.num_vgpr, 20
	.set _ZN9rocsparseL35csrgemm_symbolic_fill_block_per_rowILj512ELj32ELj1024ELj137ELj32EiiEEvT5_PKS1_S3_PKT4_S3_S6_S3_S6_S3_S6_PS1_21rocsparse_index_base_S8_S8_S8_bb.num_agpr, 0
	.set _ZN9rocsparseL35csrgemm_symbolic_fill_block_per_rowILj512ELj32ELj1024ELj137ELj32EiiEEvT5_PKS1_S3_PKT4_S3_S6_S3_S6_S3_S6_PS1_21rocsparse_index_base_S8_S8_S8_bb.numbered_sgpr, 31
	.set _ZN9rocsparseL35csrgemm_symbolic_fill_block_per_rowILj512ELj32ELj1024ELj137ELj32EiiEEvT5_PKS1_S3_PKT4_S3_S6_S3_S6_S3_S6_PS1_21rocsparse_index_base_S8_S8_S8_bb.num_named_barrier, 0
	.set _ZN9rocsparseL35csrgemm_symbolic_fill_block_per_rowILj512ELj32ELj1024ELj137ELj32EiiEEvT5_PKS1_S3_PKT4_S3_S6_S3_S6_S3_S6_PS1_21rocsparse_index_base_S8_S8_S8_bb.private_seg_size, 0
	.set _ZN9rocsparseL35csrgemm_symbolic_fill_block_per_rowILj512ELj32ELj1024ELj137ELj32EiiEEvT5_PKS1_S3_PKT4_S3_S6_S3_S6_S3_S6_PS1_21rocsparse_index_base_S8_S8_S8_bb.uses_vcc, 1
	.set _ZN9rocsparseL35csrgemm_symbolic_fill_block_per_rowILj512ELj32ELj1024ELj137ELj32EiiEEvT5_PKS1_S3_PKT4_S3_S6_S3_S6_S3_S6_PS1_21rocsparse_index_base_S8_S8_S8_bb.uses_flat_scratch, 0
	.set _ZN9rocsparseL35csrgemm_symbolic_fill_block_per_rowILj512ELj32ELj1024ELj137ELj32EiiEEvT5_PKS1_S3_PKT4_S3_S6_S3_S6_S3_S6_PS1_21rocsparse_index_base_S8_S8_S8_bb.has_dyn_sized_stack, 0
	.set _ZN9rocsparseL35csrgemm_symbolic_fill_block_per_rowILj512ELj32ELj1024ELj137ELj32EiiEEvT5_PKS1_S3_PKT4_S3_S6_S3_S6_S3_S6_PS1_21rocsparse_index_base_S8_S8_S8_bb.has_recursion, 0
	.set _ZN9rocsparseL35csrgemm_symbolic_fill_block_per_rowILj512ELj32ELj1024ELj137ELj32EiiEEvT5_PKS1_S3_PKT4_S3_S6_S3_S6_S3_S6_PS1_21rocsparse_index_base_S8_S8_S8_bb.has_indirect_call, 0
	.section	.AMDGPU.csdata,"",@progbits
; Kernel info:
; codeLenInByte = 3008
; TotalNumSgprs: 33
; NumVgprs: 20
; ScratchSize: 0
; MemoryBound: 0
; FloatMode: 240
; IeeeMode: 1
; LDSByteSize: 0 bytes/workgroup (compile time only)
; SGPRBlocks: 0
; VGPRBlocks: 1
; NumSGPRsForWavesPerEU: 33
; NumVGPRsForWavesPerEU: 20
; NamedBarCnt: 0
; Occupancy: 16
; WaveLimiterHint : 1
; COMPUTE_PGM_RSRC2:SCRATCH_EN: 0
; COMPUTE_PGM_RSRC2:USER_SGPR: 2
; COMPUTE_PGM_RSRC2:TRAP_HANDLER: 0
; COMPUTE_PGM_RSRC2:TGID_X_EN: 1
; COMPUTE_PGM_RSRC2:TGID_Y_EN: 0
; COMPUTE_PGM_RSRC2:TGID_Z_EN: 0
; COMPUTE_PGM_RSRC2:TIDIG_COMP_CNT: 0
	.section	.text._ZN9rocsparseL35csrgemm_symbolic_fill_block_per_rowILj512ELj32ELj1024ELj137ELj64EiiEEvT5_PKS1_S3_PKT4_S3_S6_S3_S6_S3_S6_PS1_21rocsparse_index_base_S8_S8_S8_bb,"axG",@progbits,_ZN9rocsparseL35csrgemm_symbolic_fill_block_per_rowILj512ELj32ELj1024ELj137ELj64EiiEEvT5_PKS1_S3_PKT4_S3_S6_S3_S6_S3_S6_PS1_21rocsparse_index_base_S8_S8_S8_bb,comdat
	.globl	_ZN9rocsparseL35csrgemm_symbolic_fill_block_per_rowILj512ELj32ELj1024ELj137ELj64EiiEEvT5_PKS1_S3_PKT4_S3_S6_S3_S6_S3_S6_PS1_21rocsparse_index_base_S8_S8_S8_bb ; -- Begin function _ZN9rocsparseL35csrgemm_symbolic_fill_block_per_rowILj512ELj32ELj1024ELj137ELj64EiiEEvT5_PKS1_S3_PKT4_S3_S6_S3_S6_S3_S6_PS1_21rocsparse_index_base_S8_S8_S8_bb
	.p2align	8
	.type	_ZN9rocsparseL35csrgemm_symbolic_fill_block_per_rowILj512ELj32ELj1024ELj137ELj64EiiEEvT5_PKS1_S3_PKT4_S3_S6_S3_S6_S3_S6_PS1_21rocsparse_index_base_S8_S8_S8_bb,@function
_ZN9rocsparseL35csrgemm_symbolic_fill_block_per_rowILj512ELj32ELj1024ELj137ELj64EiiEEvT5_PKS1_S3_PKT4_S3_S6_S3_S6_S3_S6_PS1_21rocsparse_index_base_S8_S8_S8_bb: ; @_ZN9rocsparseL35csrgemm_symbolic_fill_block_per_rowILj512ELj32ELj1024ELj137ELj64EiiEEvT5_PKS1_S3_PKT4_S3_S6_S3_S6_S3_S6_PS1_21rocsparse_index_base_S8_S8_S8_bb
; %bb.0:
	s_clause 0x3
	s_load_b128 s[20:23], s[0:1], 0x48
	s_load_b256 s[4:11], s[0:1], 0x28
	s_load_b32 s28, s[0:1], 0x0
	s_load_b256 s[12:19], s[0:1], 0x8
	v_lshl_add_u32 v1, v0, 2, 0
	s_mov_b32 s24, 0
	s_mov_b32 s2, 0
	s_delay_alu instid0(VALU_DEP_1)
	v_mov_b32_e32 v2, v1
	s_branch .LBB11_2
.LBB11_1:                               ;   in Loop: Header=BB11_2 Depth=1
	s_or_b32 exec_lo, exec_lo, s25
	s_add_co_i32 s2, s2, 2
	v_add_nc_u32_e32 v2, 0x1000, v2
	v_cmp_eq_u32_e64 s3, 2, s2
	s_or_b32 s24, s3, s24
	s_delay_alu instid0(SALU_CYCLE_1)
	s_and_not1_b32 exec_lo, exec_lo, s24
	s_cbranch_execz .LBB11_6
.LBB11_2:                               ; =>This Inner Loop Header: Depth=1
	s_mov_b32 s3, s2
	s_mov_b32 s25, exec_lo
	s_or_b64 s[26:27], s[2:3], 0x100000000
	s_delay_alu instid0(SALU_CYCLE_1)
	v_cmp_le_u32_e64 s3, s27, 1
	v_cmpx_le_u32_e64 s26, 1
	s_cbranch_execz .LBB11_4
; %bb.3:                                ;   in Loop: Header=BB11_2 Depth=1
	s_wait_kmcnt 0x0
	v_mov_b32_e32 v3, s28
	ds_store_b32 v2, v3
.LBB11_4:                               ;   in Loop: Header=BB11_2 Depth=1
	s_or_b32 exec_lo, exec_lo, s25
	s_and_saveexec_b32 s25, s3
	s_cbranch_execz .LBB11_1
; %bb.5:                                ;   in Loop: Header=BB11_2 Depth=1
	s_wait_kmcnt 0x0
	v_mov_b32_e32 v3, s28
	ds_store_b32 v2, v3 offset:2048
	s_branch .LBB11_1
.LBB11_6:
	s_or_b32 exec_lo, exec_lo, s24
	s_wait_dscnt 0x0
	s_barrier_signal -1
	s_barrier_wait -1
	s_wait_kmcnt 0x0
	s_load_b32 s3, s[12:13], 0x0
	s_bfe_u32 s2, ttmp6, 0x4000c
	s_wait_xcnt 0x0
	s_and_b32 s12, ttmp6, 15
	s_add_co_i32 s2, s2, 1
	s_getreg_b32 s13, hwreg(HW_REG_IB_STS2, 6, 4)
	s_mul_i32 s2, ttmp9, s2
	s_delay_alu instid0(SALU_CYCLE_1)
	s_add_co_i32 s12, s12, s2
	s_cmp_eq_u32 s13, 0
	s_load_b32 s2, s[0:1], 0x68
	s_cselect_b32 s12, ttmp9, s12
	s_wait_kmcnt 0x0
	s_add_co_i32 s3, s3, s12
	s_load_b128 s[24:27], s[0:1], 0x58
	s_load_b32 s12, s[14:15], s3 offset:0x0 scale_offset
	s_bitcmp0_b32 s2, 0
	s_cbranch_scc1 .LBB11_22
; %bb.7:
	s_wait_kmcnt 0x0
	s_ashr_i32 s13, s12, 31
	v_lshrrev_b32_e32 v2, 5, v0
	s_lshl_b64 s[0:1], s[12:13], 2
	s_delay_alu instid0(SALU_CYCLE_1) | instskip(NEXT) | instid1(VALU_DEP_1)
	s_add_nc_u64 s[0:1], s[16:17], s[0:1]
	v_subrev_nc_u32_e32 v2, s24, v2
	s_load_b64 s[14:15], s[0:1], 0x0
	s_wait_xcnt 0x0
	s_mov_b32 s1, exec_lo
	s_wait_kmcnt 0x0
	v_add_nc_u32_e32 v2, s14, v2
	s_sub_co_i32 s0, s15, s24
	s_delay_alu instid0(VALU_DEP_1) | instid1(SALU_CYCLE_1)
	v_cmpx_gt_i32_e64 s0, v2
	s_cbranch_execz .LBB11_21
; %bb.8:
	v_and_b32_e32 v3, 31, v0
	s_mov_b32 s3, 0
	s_delay_alu instid0(VALU_DEP_1)
	v_subrev_nc_u32_e32 v3, s25, v3
	s_branch .LBB11_10
.LBB11_9:                               ;   in Loop: Header=BB11_10 Depth=1
	s_or_b32 exec_lo, exec_lo, s13
	v_add_nc_u32_e32 v2, 16, v2
	s_delay_alu instid0(VALU_DEP_1) | instskip(SKIP_1) | instid1(SALU_CYCLE_1)
	v_cmp_le_i32_e32 vcc_lo, s0, v2
	s_or_b32 s3, vcc_lo, s3
	s_and_not1_b32 exec_lo, exec_lo, s3
	s_cbranch_execz .LBB11_21
.LBB11_10:                              ; =>This Loop Header: Depth=1
                                        ;     Child Loop BB11_13 Depth 2
                                        ;       Child Loop BB11_16 Depth 3
	global_load_b32 v4, v2, s[18:19] scale_offset
	s_mov_b32 s13, exec_lo
	s_wait_loadcnt 0x0
	v_subrev_nc_u32_e32 v4, s24, v4
	s_delay_alu instid0(VALU_DEP_1) | instskip(NEXT) | instid1(VALU_DEP_1)
	v_ashrrev_i32_e32 v5, 31, v4
	v_lshl_add_u64 v[4:5], v[4:5], 2, s[4:5]
	global_load_b64 v[6:7], v[4:5], off
	s_wait_loadcnt 0x0
	v_subrev_nc_u32_e32 v4, s25, v7
	v_add_nc_u32_e32 v5, v6, v3
	s_delay_alu instid0(VALU_DEP_1)
	v_cmpx_lt_i32_e64 v5, v4
	s_cbranch_execz .LBB11_9
; %bb.11:                               ;   in Loop: Header=BB11_10 Depth=1
	s_mov_b32 s14, 0
	s_branch .LBB11_13
.LBB11_12:                              ;   in Loop: Header=BB11_13 Depth=2
	s_or_b32 exec_lo, exec_lo, s15
	v_add_nc_u32_e32 v5, 32, v5
	s_delay_alu instid0(VALU_DEP_1) | instskip(SKIP_1) | instid1(SALU_CYCLE_1)
	v_cmp_ge_i32_e32 vcc_lo, v5, v4
	s_or_b32 s14, vcc_lo, s14
	s_and_not1_b32 exec_lo, exec_lo, s14
	s_cbranch_execz .LBB11_9
.LBB11_13:                              ;   Parent Loop BB11_10 Depth=1
                                        ; =>  This Loop Header: Depth=2
                                        ;       Child Loop BB11_16 Depth 3
	global_load_b32 v6, v5, s[6:7] scale_offset
	s_mov_b32 s15, 0
                                        ; implicit-def: $sgpr16
	s_wait_loadcnt 0x0
	v_subrev_nc_u32_e32 v6, s25, v6
	s_delay_alu instid0(VALU_DEP_1) | instskip(NEXT) | instid1(VALU_DEP_1)
	v_mul_lo_u32 v7, 0x89, v6
	v_and_b32_e32 v7, 0x3ff, v7
	s_branch .LBB11_16
.LBB11_14:                              ;   in Loop: Header=BB11_16 Depth=3
	s_or_b32 exec_lo, exec_lo, s29
	s_delay_alu instid0(SALU_CYCLE_1) | instskip(SKIP_1) | instid1(SALU_CYCLE_1)
	s_and_not1_b32 s16, s16, exec_lo
	s_and_b32 s29, s30, exec_lo
	s_or_b32 s16, s16, s29
.LBB11_15:                              ;   in Loop: Header=BB11_16 Depth=3
	s_or_b32 exec_lo, exec_lo, s17
	s_xor_b32 s17, s16, -1
	s_delay_alu instid0(SALU_CYCLE_1) | instskip(NEXT) | instid1(SALU_CYCLE_1)
	s_and_b32 s17, exec_lo, s17
	s_or_b32 s15, s17, s15
	s_delay_alu instid0(SALU_CYCLE_1)
	s_and_not1_b32 exec_lo, exec_lo, s15
	s_cbranch_execz .LBB11_12
.LBB11_16:                              ;   Parent Loop BB11_10 Depth=1
                                        ;     Parent Loop BB11_13 Depth=2
                                        ; =>    This Inner Loop Header: Depth=3
	s_delay_alu instid0(VALU_DEP_1)
	v_lshl_add_u32 v8, v7, 2, 0
	s_and_not1_b32 s16, s16, exec_lo
	s_mov_b32 s17, exec_lo
	ds_load_b32 v9, v8
	s_wait_dscnt 0x0
	v_cmpx_ne_u32_e64 v9, v6
	s_cbranch_execz .LBB11_15
; %bb.17:                               ;   in Loop: Header=BB11_16 Depth=3
	s_mov_b32 s29, exec_lo
	v_cmpx_ne_u32_e64 s28, v9
	s_xor_b32 s29, exec_lo, s29
; %bb.18:                               ;   in Loop: Header=BB11_16 Depth=3
	v_add_nc_u32_e32 v7, 1, v7
                                        ; implicit-def: $vgpr8
	s_delay_alu instid0(VALU_DEP_1)
	v_and_b32_e32 v7, 0x3ff, v7
; %bb.19:                               ;   in Loop: Header=BB11_16 Depth=3
	s_or_saveexec_b32 s29, s29
	s_mov_b32 s30, -1
	s_xor_b32 exec_lo, exec_lo, s29
	s_cbranch_execz .LBB11_14
; %bb.20:                               ;   in Loop: Header=BB11_16 Depth=3
	v_mov_b32_e32 v9, s28
	ds_cmpstore_rtn_b32 v8, v8, v6, v9
	s_wait_dscnt 0x0
	v_cmp_ne_u32_e32 vcc_lo, s28, v8
	s_or_not1_b32 s30, vcc_lo, exec_lo
	s_branch .LBB11_14
.LBB11_21:
	s_or_b32 exec_lo, exec_lo, s1
.LBB11_22:
	s_wait_xcnt 0x0
	s_bfe_u32 s0, s2, 0x10008
	s_delay_alu instid0(SALU_CYCLE_1)
	s_cmp_eq_u32 s0, 0
	s_cbranch_scc1 .LBB11_35
; %bb.23:
	s_wait_kmcnt 0x0
	s_ashr_i32 s13, s12, 31
	v_subrev_nc_u32_e32 v2, s27, v0
	s_lshl_b64 s[0:1], s[12:13], 2
	s_delay_alu instid0(SALU_CYCLE_1)
	s_add_nc_u64 s[0:1], s[8:9], s[0:1]
	s_load_b64 s[2:3], s[0:1], 0x0
	s_wait_xcnt 0x0
	s_mov_b32 s1, exec_lo
	s_wait_kmcnt 0x0
	v_add_nc_u32_e32 v2, s2, v2
	s_sub_co_i32 s0, s3, s27
	s_delay_alu instid0(VALU_DEP_1) | instid1(SALU_CYCLE_1)
	v_cmpx_gt_i32_e64 s0, v2
	s_cbranch_execz .LBB11_34
; %bb.24:
	s_mov_b32 s2, 0
	s_branch .LBB11_26
.LBB11_25:                              ;   in Loop: Header=BB11_26 Depth=1
	s_or_b32 exec_lo, exec_lo, s3
	v_add_nc_u32_e32 v2, 0x200, v2
	s_delay_alu instid0(VALU_DEP_1) | instskip(SKIP_1) | instid1(SALU_CYCLE_1)
	v_cmp_le_i32_e32 vcc_lo, s0, v2
	s_or_b32 s2, vcc_lo, s2
	s_and_not1_b32 exec_lo, exec_lo, s2
	s_cbranch_execz .LBB11_34
.LBB11_26:                              ; =>This Loop Header: Depth=1
                                        ;     Child Loop BB11_29 Depth 2
	global_load_b32 v3, v2, s[10:11] scale_offset
	s_mov_b32 s3, 0
                                        ; implicit-def: $sgpr4
	s_wait_loadcnt 0x0
	v_subrev_nc_u32_e32 v3, s27, v3
	s_delay_alu instid0(VALU_DEP_1) | instskip(NEXT) | instid1(VALU_DEP_1)
	v_mul_lo_u32 v4, 0x89, v3
	v_and_b32_e32 v4, 0x3ff, v4
	s_branch .LBB11_29
.LBB11_27:                              ;   in Loop: Header=BB11_29 Depth=2
	s_or_b32 exec_lo, exec_lo, s6
	s_delay_alu instid0(SALU_CYCLE_1) | instskip(SKIP_1) | instid1(SALU_CYCLE_1)
	s_and_not1_b32 s4, s4, exec_lo
	s_and_b32 s6, s7, exec_lo
	s_or_b32 s4, s4, s6
.LBB11_28:                              ;   in Loop: Header=BB11_29 Depth=2
	s_or_b32 exec_lo, exec_lo, s5
	s_xor_b32 s5, s4, -1
	s_delay_alu instid0(SALU_CYCLE_1) | instskip(NEXT) | instid1(SALU_CYCLE_1)
	s_and_b32 s5, exec_lo, s5
	s_or_b32 s3, s5, s3
	s_delay_alu instid0(SALU_CYCLE_1)
	s_and_not1_b32 exec_lo, exec_lo, s3
	s_cbranch_execz .LBB11_25
.LBB11_29:                              ;   Parent Loop BB11_26 Depth=1
                                        ; =>  This Inner Loop Header: Depth=2
	s_delay_alu instid0(VALU_DEP_1)
	v_lshl_add_u32 v5, v4, 2, 0
	s_and_not1_b32 s4, s4, exec_lo
	s_mov_b32 s5, exec_lo
	ds_load_b32 v6, v5
	s_wait_dscnt 0x0
	v_cmpx_ne_u32_e64 v6, v3
	s_cbranch_execz .LBB11_28
; %bb.30:                               ;   in Loop: Header=BB11_29 Depth=2
	s_mov_b32 s6, exec_lo
	v_cmpx_ne_u32_e64 s28, v6
	s_xor_b32 s6, exec_lo, s6
; %bb.31:                               ;   in Loop: Header=BB11_29 Depth=2
	v_add_nc_u32_e32 v4, 1, v4
                                        ; implicit-def: $vgpr5
	s_delay_alu instid0(VALU_DEP_1)
	v_and_b32_e32 v4, 0x3ff, v4
; %bb.32:                               ;   in Loop: Header=BB11_29 Depth=2
	s_or_saveexec_b32 s6, s6
	s_mov_b32 s7, -1
	s_xor_b32 exec_lo, exec_lo, s6
	s_cbranch_execz .LBB11_27
; %bb.33:                               ;   in Loop: Header=BB11_29 Depth=2
	v_mov_b32_e32 v6, s28
	ds_cmpstore_rtn_b32 v5, v5, v3, v6
	s_wait_dscnt 0x0
	v_cmp_ne_u32_e32 vcc_lo, s28, v5
	s_or_not1_b32 s7, vcc_lo, exec_lo
	s_branch .LBB11_27
.LBB11_34:
	s_or_b32 exec_lo, exec_lo, s1
.LBB11_35:
	v_mbcnt_lo_u32_b32 v2, -1, 0
	v_dual_mov_b32 v3, 0 :: v_dual_lshrrev_b32 v4, 4, v0
	v_cmp_lt_u32_e64 s0, 63, v0
	v_cmp_lt_u32_e64 s1, 0x7f, v0
	s_delay_alu instid0(VALU_DEP_3)
	v_dual_mov_b32 v6, 0 :: v_dual_bitop2_b32 v4, 28, v4 bitop3:0x40
	v_xor_b32_e32 v2, 31, v2
	v_cmp_lt_u32_e64 s2, 0xbf, v0
	v_cmp_lt_u32_e64 s3, 0xff, v0
	;; [unrolled: 1-line block ×3, first 2 shown]
	v_add_nc_u32_e32 v4, 0, v4
	v_lshrrev_b32_e64 v2, v2, -1
	v_cmp_lt_u32_e64 s5, 0x17f, v0
	v_cmp_lt_u32_e64 s6, 0x1bf, v0
	v_or_b32_e32 v5, 0xfffffe00, v0
	s_mov_b32 s8, 0
	v_cmp_eq_u32_e32 vcc_lo, 0x1ff, v0
	s_barrier_signal -1
	s_barrier_wait -1
	s_branch .LBB11_37
.LBB11_36:                              ;   in Loop: Header=BB11_37 Depth=1
	s_or_b32 exec_lo, exec_lo, s7
	s_wait_dscnt 0x0
	s_barrier_signal -1
	s_barrier_wait -1
	ds_load_b32 v7, v3 offset:4124
	v_add_co_u32 v5, s7, 0x200, v5
	s_xor_b32 s7, s7, -1
	v_add_nc_u32_e32 v1, 0x800, v1
	s_and_b32 s7, exec_lo, s7
	s_delay_alu instid0(SALU_CYCLE_1)
	s_or_b32 s8, s7, s8
	s_wait_dscnt 0x0
	v_add_nc_u32_e32 v6, v7, v6
	s_and_not1_b32 exec_lo, exec_lo, s8
	s_cbranch_execz .LBB11_55
.LBB11_37:                              ; =>This Inner Loop Header: Depth=1
	ds_load_b32 v7, v1
	s_wait_dscnt 0x0
	s_barrier_signal -1
	s_barrier_wait -1
	v_cmp_gt_i32_e64 s7, s28, v7
	s_bcnt1_i32_b32 s9, s7
	s_delay_alu instid0(SALU_CYCLE_1) | instskip(NEXT) | instid1(VALU_DEP_1)
	v_dual_mov_b32 v9, s9 :: v_dual_bitop2_b32 v8, s7, v2 bitop3:0x40
	v_bcnt_u32_b32 v8, v8, 0
	ds_store_b32 v4, v9 offset:4096
	s_wait_dscnt 0x0
	s_barrier_signal -1
	s_barrier_wait -1
	s_and_saveexec_b32 s9, s0
	s_cbranch_execnz .LBB11_46
; %bb.38:                               ;   in Loop: Header=BB11_37 Depth=1
	s_or_b32 exec_lo, exec_lo, s9
	s_and_saveexec_b32 s9, s1
	s_cbranch_execnz .LBB11_47
.LBB11_39:                              ;   in Loop: Header=BB11_37 Depth=1
	s_or_b32 exec_lo, exec_lo, s9
	s_and_saveexec_b32 s9, s2
	s_cbranch_execnz .LBB11_48
.LBB11_40:                              ;   in Loop: Header=BB11_37 Depth=1
	s_or_b32 exec_lo, exec_lo, s9
	s_and_saveexec_b32 s9, s3
	s_cbranch_execnz .LBB11_49
.LBB11_41:                              ;   in Loop: Header=BB11_37 Depth=1
	s_or_b32 exec_lo, exec_lo, s9
	s_and_saveexec_b32 s9, s4
	s_cbranch_execnz .LBB11_50
.LBB11_42:                              ;   in Loop: Header=BB11_37 Depth=1
	s_or_b32 exec_lo, exec_lo, s9
	s_and_saveexec_b32 s9, s5
	s_cbranch_execnz .LBB11_51
.LBB11_43:                              ;   in Loop: Header=BB11_37 Depth=1
	s_or_b32 exec_lo, exec_lo, s9
	s_and_saveexec_b32 s9, s6
	s_cbranch_execnz .LBB11_52
.LBB11_44:                              ;   in Loop: Header=BB11_37 Depth=1
	s_or_b32 exec_lo, exec_lo, s9
	s_and_saveexec_b32 s9, s7
	s_cbranch_execnz .LBB11_53
.LBB11_45:                              ;   in Loop: Header=BB11_37 Depth=1
	s_or_b32 exec_lo, exec_lo, s9
	s_and_saveexec_b32 s7, vcc_lo
	s_cbranch_execz .LBB11_36
	s_branch .LBB11_54
.LBB11_46:                              ;   in Loop: Header=BB11_37 Depth=1
	ds_load_b32 v9, v3 offset:4096
	s_wait_dscnt 0x0
	v_add_nc_u32_e32 v8, v9, v8
	s_or_b32 exec_lo, exec_lo, s9
	s_and_saveexec_b32 s9, s1
	s_cbranch_execz .LBB11_39
.LBB11_47:                              ;   in Loop: Header=BB11_37 Depth=1
	ds_load_b32 v9, v3 offset:4100
	s_wait_dscnt 0x0
	v_add_nc_u32_e32 v8, v9, v8
	s_or_b32 exec_lo, exec_lo, s9
	s_and_saveexec_b32 s9, s2
	s_cbranch_execz .LBB11_40
.LBB11_48:                              ;   in Loop: Header=BB11_37 Depth=1
	ds_load_b32 v9, v3 offset:4104
	s_wait_dscnt 0x0
	v_add_nc_u32_e32 v8, v9, v8
	s_or_b32 exec_lo, exec_lo, s9
	s_and_saveexec_b32 s9, s3
	s_cbranch_execz .LBB11_41
.LBB11_49:                              ;   in Loop: Header=BB11_37 Depth=1
	ds_load_b32 v9, v3 offset:4108
	s_wait_dscnt 0x0
	v_add_nc_u32_e32 v8, v9, v8
	s_or_b32 exec_lo, exec_lo, s9
	s_and_saveexec_b32 s9, s4
	s_cbranch_execz .LBB11_42
.LBB11_50:                              ;   in Loop: Header=BB11_37 Depth=1
	ds_load_b32 v9, v3 offset:4112
	s_wait_dscnt 0x0
	v_add_nc_u32_e32 v8, v9, v8
	s_or_b32 exec_lo, exec_lo, s9
	s_and_saveexec_b32 s9, s5
	s_cbranch_execz .LBB11_43
.LBB11_51:                              ;   in Loop: Header=BB11_37 Depth=1
	ds_load_b32 v9, v3 offset:4116
	s_wait_dscnt 0x0
	v_add_nc_u32_e32 v8, v9, v8
	s_or_b32 exec_lo, exec_lo, s9
	s_and_saveexec_b32 s9, s6
	s_cbranch_execz .LBB11_44
.LBB11_52:                              ;   in Loop: Header=BB11_37 Depth=1
	ds_load_b32 v9, v3 offset:4120
	s_wait_dscnt 0x0
	v_add_nc_u32_e32 v8, v9, v8
	s_or_b32 exec_lo, exec_lo, s9
	s_and_saveexec_b32 s9, s7
	s_cbranch_execz .LBB11_45
.LBB11_53:                              ;   in Loop: Header=BB11_37 Depth=1
	s_delay_alu instid0(VALU_DEP_1) | instskip(NEXT) | instid1(VALU_DEP_1)
	v_dual_lshlrev_b32 v9, 2, v6 :: v_dual_lshlrev_b32 v10, 2, v8
	v_add_nc_u32_e32 v9, 0, v9
	s_delay_alu instid0(VALU_DEP_1)
	v_add3_u32 v9, v9, v10, -4
	ds_store_b32 v9, v7
	s_or_b32 exec_lo, exec_lo, s9
	s_and_saveexec_b32 s7, vcc_lo
	s_cbranch_execz .LBB11_36
.LBB11_54:                              ;   in Loop: Header=BB11_37 Depth=1
	ds_store_b32 v3, v8 offset:4124
	s_branch .LBB11_36
.LBB11_55:
	s_or_b32 exec_lo, exec_lo, s8
	s_wait_kmcnt 0x0
	s_ashr_i32 s13, s12, 31
	s_delay_alu instid0(SALU_CYCLE_1) | instskip(NEXT) | instid1(SALU_CYCLE_1)
	s_lshl_b64 s[0:1], s[12:13], 2
	s_add_nc_u64 s[2:3], s[20:21], s[0:1]
	s_load_b64 s[0:1], s[2:3], 0x0
	s_wait_kmcnt 0x0
	s_sub_co_i32 s4, s1, s0
	s_mov_b32 s1, exec_lo
	v_cmpx_gt_i32_e64 s4, v0
	s_cbranch_execz .LBB11_69
; %bb.56:
	v_sub_co_u32 v1, s1, s4, 2
	s_sub_co_i32 s2, s0, s26
	s_xor_b32 s6, s1, -1
	s_and_b32 s5, s4, -2
	v_readfirstlane_b32 s3, v1
	s_lshr_b32 s0, s3, 1
	s_mov_b32 s3, 0
	s_add_co_i32 s0, s0, 1
	s_mov_b32 s11, s3
	s_and_b32 s1, s0, 7
	s_and_b32 s7, s0, -8
	s_cmp_lg_u32 s1, 0
	v_cmp_lt_u32_e64 s0, 13, v1
	s_cselect_b32 s8, -1, 0
	s_cmp_lg_u32 s4, s5
	s_cselect_b32 s9, -1, 0
	s_lshl_b32 s10, s1, 3
	s_branch .LBB11_58
.LBB11_57:                              ;   in Loop: Header=BB11_58 Depth=1
	v_add_nc_u32_e32 v0, 0x200, v0
	s_wait_dscnt 0x0
	v_add_nc_u32_e32 v1, s26, v1
	s_delay_alu instid0(VALU_DEP_2)
	v_cmp_le_i32_e32 vcc_lo, s4, v0
	global_store_b32 v2, v1, s[22:23] scale_offset
	s_or_b32 s11, vcc_lo, s11
	s_wait_xcnt 0x0
	s_and_not1_b32 exec_lo, exec_lo, s11
	s_cbranch_execz .LBB11_69
.LBB11_58:                              ; =>This Loop Header: Depth=1
                                        ;     Child Loop BB11_61 Depth 2
                                        ;     Child Loop BB11_64 Depth 2
	;; [unrolled: 1-line block ×3, first 2 shown]
	v_lshl_add_u32 v1, v0, 2, 0
	v_mov_b32_e32 v2, s2
	s_and_not1_b32 vcc_lo, exec_lo, s6
	s_mov_b32 s1, 0
	s_mov_b32 s12, -1
	ds_load_b32 v1, v1
	s_cbranch_vccnz .LBB11_66
; %bb.59:                               ;   in Loop: Header=BB11_58 Depth=1
	v_mov_b64_e32 v[2:3], s[2:3]
	s_and_not1_b32 vcc_lo, exec_lo, s0
	s_mov_b32 s12, 0
	s_cbranch_vccnz .LBB11_62
; %bb.60:                               ;   in Loop: Header=BB11_58 Depth=1
	v_dual_mov_b32 v2, s2 :: v_dual_mov_b32 v3, 0
	s_mov_b32 s13, 0
	s_mov_b32 s14, s7
.LBB11_61:                              ;   Parent Loop BB11_58 Depth=1
                                        ; =>  This Inner Loop Header: Depth=2
	v_mov_b32_e32 v18, s13
	s_add_co_i32 s14, s14, -8
	s_add_co_i32 s12, s12, 16
	s_add_co_i32 s13, s13, 64
	s_cmp_lg_u32 s14, 0
	ds_load_2addr_b32 v[4:5], v18 offset1:1
	ds_load_2addr_b32 v[6:7], v18 offset0:2 offset1:3
	ds_load_2addr_b32 v[8:9], v18 offset0:4 offset1:5
	;; [unrolled: 1-line block ×7, first 2 shown]
	s_wait_dscnt 0x7
	v_cmp_gt_i32_e32 vcc_lo, v1, v5
	s_wait_dscnt 0x5
	v_cmp_gt_i32_e64 s1, v1, v8
	v_cndmask_b32_e64 v5, 0, 1, vcc_lo
	v_cmp_gt_i32_e32 vcc_lo, v1, v4
	v_cndmask_b32_e64 v4, 0, 1, vcc_lo
	v_cmp_gt_i32_e32 vcc_lo, v1, v6
	v_cndmask_b32_e64 v6, 0, 1, s1
	v_cmp_gt_i32_e64 s1, v1, v9
	s_delay_alu instid0(VALU_DEP_4) | instskip(NEXT) | instid1(VALU_DEP_2)
	v_add_co_ci_u32_e64 v2, null, v2, v4, vcc_lo
	v_cndmask_b32_e64 v8, 0, 1, s1
	s_wait_dscnt 0x4
	v_cmp_gt_i32_e64 s1, v1, v11
	s_wait_dscnt 0x2
	v_cmp_gt_i32_e32 vcc_lo, v1, v14
	s_delay_alu instid0(VALU_DEP_2) | instskip(SKIP_4) | instid1(VALU_DEP_3)
	v_cndmask_b32_e64 v9, 0, 1, s1
	v_cmp_gt_i32_e64 s1, v1, v10
	v_add_co_ci_u32_e64 v2, null, v2, v6, vcc_lo
	s_wait_dscnt 0x1
	v_cmp_gt_i32_e32 vcc_lo, v1, v16
	v_cndmask_b32_e64 v10, 0, 1, s1
	v_cmp_gt_i32_e64 s1, v1, v12
	s_delay_alu instid0(VALU_DEP_2) | instskip(NEXT) | instid1(VALU_DEP_2)
	v_add_co_ci_u32_e64 v2, null, v2, v10, vcc_lo
	v_cndmask_b32_e64 v11, 0, 1, s1
	v_cmp_gt_i32_e64 s1, v1, v13
	s_wait_dscnt 0x0
	v_cmp_gt_i32_e32 vcc_lo, v1, v18
	s_delay_alu instid0(VALU_DEP_2) | instskip(SKIP_2) | instid1(VALU_DEP_2)
	v_cndmask_b32_e64 v12, 0, 1, s1
	v_cmp_gt_i32_e64 s1, v1, v7
	v_add_co_ci_u32_e64 v2, null, v2, v11, vcc_lo
	v_add_co_ci_u32_e64 v3, null, v3, v5, s1
	v_cmp_gt_i32_e64 s1, v1, v15
	s_delay_alu instid0(VALU_DEP_1) | instskip(SKIP_1) | instid1(VALU_DEP_1)
	v_add_co_ci_u32_e64 v3, null, v3, v8, s1
	v_cmp_gt_i32_e64 s1, v1, v17
	v_add_co_ci_u32_e64 v3, null, v3, v9, s1
	v_cmp_gt_i32_e64 s1, v1, v19
	s_delay_alu instid0(VALU_DEP_1)
	v_add_co_ci_u32_e64 v3, null, v3, v12, s1
	s_cbranch_scc1 .LBB11_61
.LBB11_62:                              ;   in Loop: Header=BB11_58 Depth=1
	s_and_not1_b32 vcc_lo, exec_lo, s8
	s_cbranch_vccnz .LBB11_65
; %bb.63:                               ;   in Loop: Header=BB11_58 Depth=1
	s_lshl_b32 s1, s12, 2
	s_mov_b32 s12, s10
	s_add_co_i32 s1, s1, 0
.LBB11_64:                              ;   Parent Loop BB11_58 Depth=1
                                        ; =>  This Inner Loop Header: Depth=2
	s_delay_alu instid0(SALU_CYCLE_1)
	v_mov_b32_e32 v4, s1
	s_add_co_i32 s12, s12, -8
	s_add_co_i32 s1, s1, 8
	s_cmp_lg_u32 s12, 0
	ds_load_2addr_b32 v[4:5], v4 offset1:1
	s_wait_dscnt 0x0
	v_cmp_gt_i32_e32 vcc_lo, v1, v5
	v_add_co_ci_u32_e64 v3, null, 0, v3, vcc_lo
	v_cmp_gt_i32_e32 vcc_lo, v1, v4
	v_add_co_ci_u32_e64 v2, null, 0, v2, vcc_lo
	s_cbranch_scc1 .LBB11_64
.LBB11_65:                              ;   in Loop: Header=BB11_58 Depth=1
	s_delay_alu instid0(VALU_DEP_1)
	v_add_nc_u32_e32 v2, v2, v3
	s_mov_b32 s1, s5
	s_mov_b32 s12, s9
.LBB11_66:                              ;   in Loop: Header=BB11_58 Depth=1
	s_delay_alu instid0(SALU_CYCLE_1)
	s_and_b32 vcc_lo, exec_lo, s12
	s_cbranch_vccz .LBB11_57
; %bb.67:                               ;   in Loop: Header=BB11_58 Depth=1
	s_lshl_b32 s12, s1, 2
	s_delay_alu instid0(SALU_CYCLE_1)
	s_add_co_i32 s12, s12, 0
.LBB11_68:                              ;   Parent Loop BB11_58 Depth=1
                                        ; =>  This Inner Loop Header: Depth=2
	s_delay_alu instid0(SALU_CYCLE_1)
	v_mov_b32_e32 v3, s12
	s_add_co_i32 s1, s1, 1
	s_add_co_i32 s12, s12, 4
	s_cmp_ge_i32 s1, s4
	ds_load_b32 v3, v3
	s_wait_dscnt 0x0
	v_cmp_gt_i32_e32 vcc_lo, v1, v3
	v_add_co_ci_u32_e64 v2, null, 0, v2, vcc_lo
	s_cbranch_scc0 .LBB11_68
	s_branch .LBB11_57
.LBB11_69:
	s_endpgm
	.section	.rodata,"a",@progbits
	.p2align	6, 0x0
	.amdhsa_kernel _ZN9rocsparseL35csrgemm_symbolic_fill_block_per_rowILj512ELj32ELj1024ELj137ELj64EiiEEvT5_PKS1_S3_PKT4_S3_S6_S3_S6_S3_S6_PS1_21rocsparse_index_base_S8_S8_S8_bb
		.amdhsa_group_segment_fixed_size 0
		.amdhsa_private_segment_fixed_size 0
		.amdhsa_kernarg_size 108
		.amdhsa_user_sgpr_count 2
		.amdhsa_user_sgpr_dispatch_ptr 0
		.amdhsa_user_sgpr_queue_ptr 0
		.amdhsa_user_sgpr_kernarg_segment_ptr 1
		.amdhsa_user_sgpr_dispatch_id 0
		.amdhsa_user_sgpr_kernarg_preload_length 0
		.amdhsa_user_sgpr_kernarg_preload_offset 0
		.amdhsa_user_sgpr_private_segment_size 0
		.amdhsa_wavefront_size32 1
		.amdhsa_uses_dynamic_stack 0
		.amdhsa_enable_private_segment 0
		.amdhsa_system_sgpr_workgroup_id_x 1
		.amdhsa_system_sgpr_workgroup_id_y 0
		.amdhsa_system_sgpr_workgroup_id_z 0
		.amdhsa_system_sgpr_workgroup_info 0
		.amdhsa_system_vgpr_workitem_id 0
		.amdhsa_next_free_vgpr 20
		.amdhsa_next_free_sgpr 31
		.amdhsa_named_barrier_count 0
		.amdhsa_reserve_vcc 1
		.amdhsa_float_round_mode_32 0
		.amdhsa_float_round_mode_16_64 0
		.amdhsa_float_denorm_mode_32 3
		.amdhsa_float_denorm_mode_16_64 3
		.amdhsa_fp16_overflow 0
		.amdhsa_memory_ordered 1
		.amdhsa_forward_progress 1
		.amdhsa_inst_pref_size 21
		.amdhsa_round_robin_scheduling 0
		.amdhsa_exception_fp_ieee_invalid_op 0
		.amdhsa_exception_fp_denorm_src 0
		.amdhsa_exception_fp_ieee_div_zero 0
		.amdhsa_exception_fp_ieee_overflow 0
		.amdhsa_exception_fp_ieee_underflow 0
		.amdhsa_exception_fp_ieee_inexact 0
		.amdhsa_exception_int_div_zero 0
	.end_amdhsa_kernel
	.section	.text._ZN9rocsparseL35csrgemm_symbolic_fill_block_per_rowILj512ELj32ELj1024ELj137ELj64EiiEEvT5_PKS1_S3_PKT4_S3_S6_S3_S6_S3_S6_PS1_21rocsparse_index_base_S8_S8_S8_bb,"axG",@progbits,_ZN9rocsparseL35csrgemm_symbolic_fill_block_per_rowILj512ELj32ELj1024ELj137ELj64EiiEEvT5_PKS1_S3_PKT4_S3_S6_S3_S6_S3_S6_PS1_21rocsparse_index_base_S8_S8_S8_bb,comdat
.Lfunc_end11:
	.size	_ZN9rocsparseL35csrgemm_symbolic_fill_block_per_rowILj512ELj32ELj1024ELj137ELj64EiiEEvT5_PKS1_S3_PKT4_S3_S6_S3_S6_S3_S6_PS1_21rocsparse_index_base_S8_S8_S8_bb, .Lfunc_end11-_ZN9rocsparseL35csrgemm_symbolic_fill_block_per_rowILj512ELj32ELj1024ELj137ELj64EiiEEvT5_PKS1_S3_PKT4_S3_S6_S3_S6_S3_S6_PS1_21rocsparse_index_base_S8_S8_S8_bb
                                        ; -- End function
	.set _ZN9rocsparseL35csrgemm_symbolic_fill_block_per_rowILj512ELj32ELj1024ELj137ELj64EiiEEvT5_PKS1_S3_PKT4_S3_S6_S3_S6_S3_S6_PS1_21rocsparse_index_base_S8_S8_S8_bb.num_vgpr, 20
	.set _ZN9rocsparseL35csrgemm_symbolic_fill_block_per_rowILj512ELj32ELj1024ELj137ELj64EiiEEvT5_PKS1_S3_PKT4_S3_S6_S3_S6_S3_S6_PS1_21rocsparse_index_base_S8_S8_S8_bb.num_agpr, 0
	.set _ZN9rocsparseL35csrgemm_symbolic_fill_block_per_rowILj512ELj32ELj1024ELj137ELj64EiiEEvT5_PKS1_S3_PKT4_S3_S6_S3_S6_S3_S6_PS1_21rocsparse_index_base_S8_S8_S8_bb.numbered_sgpr, 31
	.set _ZN9rocsparseL35csrgemm_symbolic_fill_block_per_rowILj512ELj32ELj1024ELj137ELj64EiiEEvT5_PKS1_S3_PKT4_S3_S6_S3_S6_S3_S6_PS1_21rocsparse_index_base_S8_S8_S8_bb.num_named_barrier, 0
	.set _ZN9rocsparseL35csrgemm_symbolic_fill_block_per_rowILj512ELj32ELj1024ELj137ELj64EiiEEvT5_PKS1_S3_PKT4_S3_S6_S3_S6_S3_S6_PS1_21rocsparse_index_base_S8_S8_S8_bb.private_seg_size, 0
	.set _ZN9rocsparseL35csrgemm_symbolic_fill_block_per_rowILj512ELj32ELj1024ELj137ELj64EiiEEvT5_PKS1_S3_PKT4_S3_S6_S3_S6_S3_S6_PS1_21rocsparse_index_base_S8_S8_S8_bb.uses_vcc, 1
	.set _ZN9rocsparseL35csrgemm_symbolic_fill_block_per_rowILj512ELj32ELj1024ELj137ELj64EiiEEvT5_PKS1_S3_PKT4_S3_S6_S3_S6_S3_S6_PS1_21rocsparse_index_base_S8_S8_S8_bb.uses_flat_scratch, 0
	.set _ZN9rocsparseL35csrgemm_symbolic_fill_block_per_rowILj512ELj32ELj1024ELj137ELj64EiiEEvT5_PKS1_S3_PKT4_S3_S6_S3_S6_S3_S6_PS1_21rocsparse_index_base_S8_S8_S8_bb.has_dyn_sized_stack, 0
	.set _ZN9rocsparseL35csrgemm_symbolic_fill_block_per_rowILj512ELj32ELj1024ELj137ELj64EiiEEvT5_PKS1_S3_PKT4_S3_S6_S3_S6_S3_S6_PS1_21rocsparse_index_base_S8_S8_S8_bb.has_recursion, 0
	.set _ZN9rocsparseL35csrgemm_symbolic_fill_block_per_rowILj512ELj32ELj1024ELj137ELj64EiiEEvT5_PKS1_S3_PKT4_S3_S6_S3_S6_S3_S6_PS1_21rocsparse_index_base_S8_S8_S8_bb.has_indirect_call, 0
	.section	.AMDGPU.csdata,"",@progbits
; Kernel info:
; codeLenInByte = 2612
; TotalNumSgprs: 33
; NumVgprs: 20
; ScratchSize: 0
; MemoryBound: 0
; FloatMode: 240
; IeeeMode: 1
; LDSByteSize: 0 bytes/workgroup (compile time only)
; SGPRBlocks: 0
; VGPRBlocks: 1
; NumSGPRsForWavesPerEU: 33
; NumVGPRsForWavesPerEU: 20
; NamedBarCnt: 0
; Occupancy: 16
; WaveLimiterHint : 1
; COMPUTE_PGM_RSRC2:SCRATCH_EN: 0
; COMPUTE_PGM_RSRC2:USER_SGPR: 2
; COMPUTE_PGM_RSRC2:TRAP_HANDLER: 0
; COMPUTE_PGM_RSRC2:TGID_X_EN: 1
; COMPUTE_PGM_RSRC2:TGID_Y_EN: 0
; COMPUTE_PGM_RSRC2:TGID_Z_EN: 0
; COMPUTE_PGM_RSRC2:TIDIG_COMP_CNT: 0
	.section	.text._ZN9rocsparseL35csrgemm_symbolic_fill_block_per_rowILj1024ELj32ELj2048ELj137ELj32EiiEEvT5_PKS1_S3_PKT4_S3_S6_S3_S6_S3_S6_PS1_21rocsparse_index_base_S8_S8_S8_bb,"axG",@progbits,_ZN9rocsparseL35csrgemm_symbolic_fill_block_per_rowILj1024ELj32ELj2048ELj137ELj32EiiEEvT5_PKS1_S3_PKT4_S3_S6_S3_S6_S3_S6_PS1_21rocsparse_index_base_S8_S8_S8_bb,comdat
	.globl	_ZN9rocsparseL35csrgemm_symbolic_fill_block_per_rowILj1024ELj32ELj2048ELj137ELj32EiiEEvT5_PKS1_S3_PKT4_S3_S6_S3_S6_S3_S6_PS1_21rocsparse_index_base_S8_S8_S8_bb ; -- Begin function _ZN9rocsparseL35csrgemm_symbolic_fill_block_per_rowILj1024ELj32ELj2048ELj137ELj32EiiEEvT5_PKS1_S3_PKT4_S3_S6_S3_S6_S3_S6_PS1_21rocsparse_index_base_S8_S8_S8_bb
	.p2align	8
	.type	_ZN9rocsparseL35csrgemm_symbolic_fill_block_per_rowILj1024ELj32ELj2048ELj137ELj32EiiEEvT5_PKS1_S3_PKT4_S3_S6_S3_S6_S3_S6_PS1_21rocsparse_index_base_S8_S8_S8_bb,@function
_ZN9rocsparseL35csrgemm_symbolic_fill_block_per_rowILj1024ELj32ELj2048ELj137ELj32EiiEEvT5_PKS1_S3_PKT4_S3_S6_S3_S6_S3_S6_PS1_21rocsparse_index_base_S8_S8_S8_bb: ; @_ZN9rocsparseL35csrgemm_symbolic_fill_block_per_rowILj1024ELj32ELj2048ELj137ELj32EiiEEvT5_PKS1_S3_PKT4_S3_S6_S3_S6_S3_S6_PS1_21rocsparse_index_base_S8_S8_S8_bb
; %bb.0:
	s_clause 0x1
	s_load_b32 s33, s[0:1], 0x0
	s_load_b128 s[4:7], s[0:1], 0x8
	v_lshl_add_u32 v1, v0, 2, 0
	s_bfe_u32 s3, ttmp6, 0x4000c
	s_load_b32 s8, s[0:1], 0x68
	s_add_co_i32 s3, s3, 1
	s_delay_alu instid0(SALU_CYCLE_1)
	s_mul_i32 s3, ttmp9, s3
	s_wait_kmcnt 0x0
	v_dual_mov_b32 v2, s33 :: v_dual_mov_b32 v3, s33
	ds_store_2addr_stride64_b32 v1, v2, v3 offset1:16
	s_wait_dscnt 0x0
	s_barrier_signal -1
	s_barrier_wait -1
	s_load_b32 s2, s[4:5], 0x0
	s_wait_xcnt 0x0
	s_and_b32 s4, ttmp6, 15
	s_getreg_b32 s5, hwreg(HW_REG_IB_STS2, 6, 4)
	s_add_co_i32 s4, s4, s3
	s_cmp_eq_u32 s5, 0
	v_lshrrev_b32_e32 v2, 5, v0
	s_cselect_b32 s3, ttmp9, s4
	s_wait_kmcnt 0x0
	s_add_co_i32 s2, s2, s3
	s_load_b128 s[36:39], s[0:1], 0x58
	s_load_b32 s40, s[6:7], s2 offset:0x0 scale_offset
	s_bitcmp0_b32 s8, 0
	s_cbranch_scc1 .LBB12_16
; %bb.1:
	s_wait_xcnt 0x0
	s_load_b64 s[2:3], s[0:1], 0x18
	s_wait_kmcnt 0x0
	s_ashr_i32 s41, s40, 31
	v_subrev_nc_u32_e32 v3, s36, v2
	s_lshl_b64 s[4:5], s[40:41], 2
	s_mov_b32 s10, exec_lo
	s_add_nc_u64 s[2:3], s[2:3], s[4:5]
	s_load_b64 s[4:5], s[2:3], 0x0
	s_wait_kmcnt 0x0
	v_add_nc_u32_e32 v3, s4, v3
	s_sub_co_i32 s9, s5, s36
	s_delay_alu instid0(VALU_DEP_1) | instid1(SALU_CYCLE_1)
	v_cmpx_gt_i32_e64 s9, v3
	s_cbranch_execz .LBB12_15
; %bb.2:
	s_clause 0x1
	s_load_b128 s[4:7], s[0:1], 0x20
	s_load_b64 s[2:3], s[0:1], 0x30
	v_and_b32_e32 v4, 31, v0
	s_mov_b32 s11, 0
	s_delay_alu instid0(VALU_DEP_1)
	v_subrev_nc_u32_e32 v4, s37, v4
	s_branch .LBB12_4
.LBB12_3:                               ;   in Loop: Header=BB12_4 Depth=1
	s_or_b32 exec_lo, exec_lo, s12
	v_add_nc_u32_e32 v3, 32, v3
	s_delay_alu instid0(VALU_DEP_1) | instskip(SKIP_1) | instid1(SALU_CYCLE_1)
	v_cmp_le_i32_e32 vcc_lo, s9, v3
	s_or_b32 s11, vcc_lo, s11
	s_and_not1_b32 exec_lo, exec_lo, s11
	s_cbranch_execz .LBB12_15
.LBB12_4:                               ; =>This Loop Header: Depth=1
                                        ;     Child Loop BB12_7 Depth 2
                                        ;       Child Loop BB12_10 Depth 3
	s_wait_kmcnt 0x0
	global_load_b32 v5, v3, s[4:5] scale_offset
	s_mov_b32 s12, exec_lo
	s_wait_loadcnt 0x0
	v_subrev_nc_u32_e32 v6, s36, v5
	s_delay_alu instid0(VALU_DEP_1) | instskip(NEXT) | instid1(VALU_DEP_1)
	v_ashrrev_i32_e32 v7, 31, v6
	v_lshl_add_u64 v[6:7], v[6:7], 2, s[6:7]
	global_load_b64 v[6:7], v[6:7], off
	s_wait_loadcnt 0x0
	v_subrev_nc_u32_e32 v5, s37, v7
	v_add_nc_u32_e32 v6, v6, v4
	s_delay_alu instid0(VALU_DEP_1)
	v_cmpx_lt_i32_e64 v6, v5
	s_cbranch_execz .LBB12_3
; %bb.5:                                ;   in Loop: Header=BB12_4 Depth=1
	s_mov_b32 s13, 0
	s_branch .LBB12_7
.LBB12_6:                               ;   in Loop: Header=BB12_7 Depth=2
	s_or_b32 exec_lo, exec_lo, s14
	v_add_nc_u32_e32 v6, 32, v6
	s_delay_alu instid0(VALU_DEP_1) | instskip(SKIP_1) | instid1(SALU_CYCLE_1)
	v_cmp_ge_i32_e32 vcc_lo, v6, v5
	s_or_b32 s13, vcc_lo, s13
	s_and_not1_b32 exec_lo, exec_lo, s13
	s_cbranch_execz .LBB12_3
.LBB12_7:                               ;   Parent Loop BB12_4 Depth=1
                                        ; =>  This Loop Header: Depth=2
                                        ;       Child Loop BB12_10 Depth 3
	global_load_b32 v7, v6, s[2:3] scale_offset
	s_mov_b32 s14, 0
                                        ; implicit-def: $sgpr15
	s_wait_loadcnt 0x0
	v_subrev_nc_u32_e32 v7, s37, v7
	s_delay_alu instid0(VALU_DEP_1) | instskip(NEXT) | instid1(VALU_DEP_1)
	v_mul_lo_u32 v8, 0x89, v7
	v_and_b32_e32 v8, 0x7ff, v8
	s_branch .LBB12_10
.LBB12_8:                               ;   in Loop: Header=BB12_10 Depth=3
	s_or_b32 exec_lo, exec_lo, s17
	s_delay_alu instid0(SALU_CYCLE_1) | instskip(SKIP_1) | instid1(SALU_CYCLE_1)
	s_and_not1_b32 s15, s15, exec_lo
	s_and_b32 s17, s18, exec_lo
	s_or_b32 s15, s15, s17
.LBB12_9:                               ;   in Loop: Header=BB12_10 Depth=3
	s_or_b32 exec_lo, exec_lo, s16
	s_xor_b32 s16, s15, -1
	s_delay_alu instid0(SALU_CYCLE_1) | instskip(NEXT) | instid1(SALU_CYCLE_1)
	s_and_b32 s16, exec_lo, s16
	s_or_b32 s14, s16, s14
	s_delay_alu instid0(SALU_CYCLE_1)
	s_and_not1_b32 exec_lo, exec_lo, s14
	s_cbranch_execz .LBB12_6
.LBB12_10:                              ;   Parent Loop BB12_4 Depth=1
                                        ;     Parent Loop BB12_7 Depth=2
                                        ; =>    This Inner Loop Header: Depth=3
	s_delay_alu instid0(VALU_DEP_1)
	v_lshl_add_u32 v9, v8, 2, 0
	s_and_not1_b32 s15, s15, exec_lo
	s_mov_b32 s16, exec_lo
	ds_load_b32 v10, v9
	s_wait_dscnt 0x0
	v_cmpx_ne_u32_e64 v10, v7
	s_cbranch_execz .LBB12_9
; %bb.11:                               ;   in Loop: Header=BB12_10 Depth=3
	s_mov_b32 s17, exec_lo
	v_cmpx_ne_u32_e64 s33, v10
	s_xor_b32 s17, exec_lo, s17
; %bb.12:                               ;   in Loop: Header=BB12_10 Depth=3
	v_add_nc_u32_e32 v8, 1, v8
                                        ; implicit-def: $vgpr9
	s_delay_alu instid0(VALU_DEP_1)
	v_and_b32_e32 v8, 0x7ff, v8
; %bb.13:                               ;   in Loop: Header=BB12_10 Depth=3
	s_or_saveexec_b32 s17, s17
	s_mov_b32 s18, -1
	s_xor_b32 exec_lo, exec_lo, s17
	s_cbranch_execz .LBB12_8
; %bb.14:                               ;   in Loop: Header=BB12_10 Depth=3
	v_mov_b32_e32 v10, s33
	ds_cmpstore_rtn_b32 v9, v9, v7, v10
	s_wait_dscnt 0x0
	v_cmp_ne_u32_e32 vcc_lo, s33, v9
	s_or_not1_b32 s18, vcc_lo, exec_lo
	s_branch .LBB12_8
.LBB12_15:
	s_or_b32 exec_lo, exec_lo, s10
.LBB12_16:
	s_load_b64 s[34:35], s[0:1], 0x50
	s_wait_xcnt 0x0
	s_bfe_u32 s2, s8, 0x10008
	s_delay_alu instid0(SALU_CYCLE_1)
	s_cmp_eq_u32 s2, 0
	s_cbranch_scc1 .LBB12_29
; %bb.17:
	s_load_b64 s[2:3], s[0:1], 0x38
	s_wait_kmcnt 0x0
	s_ashr_i32 s41, s40, 31
	v_subrev_nc_u32_e32 v3, s39, v0
	s_lshl_b64 s[4:5], s[40:41], 2
	s_delay_alu instid0(SALU_CYCLE_1)
	s_add_nc_u64 s[2:3], s[2:3], s[4:5]
	s_load_b64 s[4:5], s[2:3], 0x0
	s_wait_kmcnt 0x0
	v_add_nc_u32_e32 v3, s4, v3
	s_sub_co_i32 s4, s5, s39
	s_mov_b32 s5, exec_lo
	s_delay_alu instid0(VALU_DEP_1)
	v_cmpx_gt_i32_e64 s4, v3
	s_cbranch_execz .LBB12_28
; %bb.18:
	s_load_b64 s[2:3], s[0:1], 0x40
	s_mov_b32 s6, 0
	s_branch .LBB12_20
.LBB12_19:                              ;   in Loop: Header=BB12_20 Depth=1
	s_or_b32 exec_lo, exec_lo, s7
	v_add_nc_u32_e32 v3, 0x400, v3
	s_delay_alu instid0(VALU_DEP_1) | instskip(SKIP_1) | instid1(SALU_CYCLE_1)
	v_cmp_le_i32_e32 vcc_lo, s4, v3
	s_or_b32 s6, vcc_lo, s6
	s_and_not1_b32 exec_lo, exec_lo, s6
	s_cbranch_execz .LBB12_28
.LBB12_20:                              ; =>This Loop Header: Depth=1
                                        ;     Child Loop BB12_23 Depth 2
	s_wait_kmcnt 0x0
	global_load_b32 v4, v3, s[2:3] scale_offset
	s_mov_b32 s7, 0
                                        ; implicit-def: $sgpr8
	s_wait_loadcnt 0x0
	v_subrev_nc_u32_e32 v4, s39, v4
	s_delay_alu instid0(VALU_DEP_1) | instskip(NEXT) | instid1(VALU_DEP_1)
	v_mul_lo_u32 v5, 0x89, v4
	v_and_b32_e32 v5, 0x7ff, v5
	s_branch .LBB12_23
.LBB12_21:                              ;   in Loop: Header=BB12_23 Depth=2
	s_or_b32 exec_lo, exec_lo, s10
	s_delay_alu instid0(SALU_CYCLE_1) | instskip(SKIP_1) | instid1(SALU_CYCLE_1)
	s_and_not1_b32 s8, s8, exec_lo
	s_and_b32 s10, s11, exec_lo
	s_or_b32 s8, s8, s10
.LBB12_22:                              ;   in Loop: Header=BB12_23 Depth=2
	s_or_b32 exec_lo, exec_lo, s9
	s_xor_b32 s9, s8, -1
	s_delay_alu instid0(SALU_CYCLE_1) | instskip(NEXT) | instid1(SALU_CYCLE_1)
	s_and_b32 s9, exec_lo, s9
	s_or_b32 s7, s9, s7
	s_delay_alu instid0(SALU_CYCLE_1)
	s_and_not1_b32 exec_lo, exec_lo, s7
	s_cbranch_execz .LBB12_19
.LBB12_23:                              ;   Parent Loop BB12_20 Depth=1
                                        ; =>  This Inner Loop Header: Depth=2
	s_delay_alu instid0(VALU_DEP_1)
	v_lshl_add_u32 v6, v5, 2, 0
	s_and_not1_b32 s8, s8, exec_lo
	s_mov_b32 s9, exec_lo
	ds_load_b32 v7, v6
	s_wait_dscnt 0x0
	v_cmpx_ne_u32_e64 v7, v4
	s_cbranch_execz .LBB12_22
; %bb.24:                               ;   in Loop: Header=BB12_23 Depth=2
	s_mov_b32 s10, exec_lo
	v_cmpx_ne_u32_e64 s33, v7
	s_xor_b32 s10, exec_lo, s10
; %bb.25:                               ;   in Loop: Header=BB12_23 Depth=2
	v_add_nc_u32_e32 v5, 1, v5
                                        ; implicit-def: $vgpr6
	s_delay_alu instid0(VALU_DEP_1)
	v_and_b32_e32 v5, 0x7ff, v5
; %bb.26:                               ;   in Loop: Header=BB12_23 Depth=2
	s_or_saveexec_b32 s10, s10
	s_mov_b32 s11, -1
	s_xor_b32 exec_lo, exec_lo, s10
	s_cbranch_execz .LBB12_21
; %bb.27:                               ;   in Loop: Header=BB12_23 Depth=2
	v_mov_b32_e32 v7, s33
	ds_cmpstore_rtn_b32 v6, v6, v4, v7
	s_wait_dscnt 0x0
	v_cmp_ne_u32_e32 vcc_lo, s33, v6
	s_or_not1_b32 s11, vcc_lo, exec_lo
	s_branch .LBB12_21
.LBB12_28:
	s_or_b32 exec_lo, exec_lo, s5
.LBB12_29:
	s_wait_kmcnt 0x0
	s_load_b64 s[36:37], s[0:1], 0x48
	v_mbcnt_lo_u32_b32 v5, -1, 0
	v_mov_b32_e32 v3, 0
	v_lshl_add_u32 v4, v2, 2, 0
	s_wait_xcnt 0x0
	v_cmp_lt_u32_e64 s0, 31, v0
	v_cmp_lt_u32_e64 s1, 63, v0
	v_xor_b32_e32 v2, 31, v5
	v_cmp_lt_u32_e64 s2, 0x5f, v0
	v_cmp_lt_u32_e64 s3, 0x7f, v0
	;; [unrolled: 1-line block ×4, first 2 shown]
	v_lshrrev_b32_e64 v2, v2, -1
	v_cmp_lt_u32_e64 s6, 0xdf, v0
	v_cmp_lt_u32_e64 s7, 0xff, v0
	;; [unrolled: 1-line block ×25, first 2 shown]
	v_or_b32_e32 v5, 0xfffffc00, v0
	v_mov_b32_e32 v6, 0
	s_mov_b32 s39, 0
	v_cmp_eq_u32_e32 vcc_lo, 0x3ff, v0
	s_barrier_signal -1
	s_barrier_wait -1
	s_branch .LBB12_31
.LBB12_30:                              ;   in Loop: Header=BB12_31 Depth=1
	s_or_b32 exec_lo, exec_lo, s31
	s_wait_dscnt 0x0
	s_barrier_signal -1
	s_barrier_wait -1
	ds_load_b32 v7, v3 offset:8316
	v_add_co_u32 v5, s31, 0x400, v5
	s_xor_b32 s31, s31, -1
	v_add_nc_u32_e32 v1, 0x1000, v1
	s_and_b32 s31, exec_lo, s31
	s_delay_alu instid0(SALU_CYCLE_1)
	s_or_b32 s39, s31, s39
	s_wait_dscnt 0x0
	v_add_nc_u32_e32 v6, v7, v6
	s_and_not1_b32 exec_lo, exec_lo, s39
	s_cbranch_execz .LBB12_97
.LBB12_31:                              ; =>This Inner Loop Header: Depth=1
	ds_load_b32 v7, v1
	s_wait_dscnt 0x0
	s_barrier_signal -1
	s_barrier_wait -1
	v_cmp_gt_i32_e64 s31, s33, v7
	s_bcnt1_i32_b32 s41, s31
	s_delay_alu instid0(SALU_CYCLE_1) | instskip(NEXT) | instid1(VALU_DEP_1)
	v_dual_mov_b32 v9, s41 :: v_dual_bitop2_b32 v8, s31, v2 bitop3:0x40
	v_bcnt_u32_b32 v8, v8, 0
	ds_store_b32 v4, v9 offset:8192
	s_wait_dscnt 0x0
	s_barrier_signal -1
	s_barrier_wait -1
	s_and_saveexec_b32 s41, s0
	s_cbranch_execnz .LBB12_64
; %bb.32:                               ;   in Loop: Header=BB12_31 Depth=1
	s_or_b32 exec_lo, exec_lo, s41
	s_and_saveexec_b32 s41, s1
	s_cbranch_execnz .LBB12_65
.LBB12_33:                              ;   in Loop: Header=BB12_31 Depth=1
	s_or_b32 exec_lo, exec_lo, s41
	s_and_saveexec_b32 s41, s2
	s_cbranch_execnz .LBB12_66
.LBB12_34:                              ;   in Loop: Header=BB12_31 Depth=1
	s_or_b32 exec_lo, exec_lo, s41
	s_and_saveexec_b32 s41, s3
	s_cbranch_execnz .LBB12_67
.LBB12_35:                              ;   in Loop: Header=BB12_31 Depth=1
	s_or_b32 exec_lo, exec_lo, s41
	s_and_saveexec_b32 s41, s4
	s_cbranch_execnz .LBB12_68
.LBB12_36:                              ;   in Loop: Header=BB12_31 Depth=1
	s_or_b32 exec_lo, exec_lo, s41
	s_and_saveexec_b32 s41, s5
	s_cbranch_execnz .LBB12_69
.LBB12_37:                              ;   in Loop: Header=BB12_31 Depth=1
	s_or_b32 exec_lo, exec_lo, s41
	s_and_saveexec_b32 s41, s6
	s_cbranch_execnz .LBB12_70
.LBB12_38:                              ;   in Loop: Header=BB12_31 Depth=1
	s_or_b32 exec_lo, exec_lo, s41
	s_and_saveexec_b32 s41, s7
	s_cbranch_execnz .LBB12_71
.LBB12_39:                              ;   in Loop: Header=BB12_31 Depth=1
	s_or_b32 exec_lo, exec_lo, s41
	s_and_saveexec_b32 s41, s8
	s_cbranch_execnz .LBB12_72
.LBB12_40:                              ;   in Loop: Header=BB12_31 Depth=1
	s_or_b32 exec_lo, exec_lo, s41
	s_and_saveexec_b32 s41, s9
	s_cbranch_execnz .LBB12_73
.LBB12_41:                              ;   in Loop: Header=BB12_31 Depth=1
	s_or_b32 exec_lo, exec_lo, s41
	s_and_saveexec_b32 s41, s10
	s_cbranch_execnz .LBB12_74
.LBB12_42:                              ;   in Loop: Header=BB12_31 Depth=1
	s_or_b32 exec_lo, exec_lo, s41
	s_and_saveexec_b32 s41, s11
	s_cbranch_execnz .LBB12_75
.LBB12_43:                              ;   in Loop: Header=BB12_31 Depth=1
	s_or_b32 exec_lo, exec_lo, s41
	s_and_saveexec_b32 s41, s12
	s_cbranch_execnz .LBB12_76
.LBB12_44:                              ;   in Loop: Header=BB12_31 Depth=1
	s_or_b32 exec_lo, exec_lo, s41
	s_and_saveexec_b32 s41, s13
	s_cbranch_execnz .LBB12_77
.LBB12_45:                              ;   in Loop: Header=BB12_31 Depth=1
	s_or_b32 exec_lo, exec_lo, s41
	s_and_saveexec_b32 s41, s14
	s_cbranch_execnz .LBB12_78
.LBB12_46:                              ;   in Loop: Header=BB12_31 Depth=1
	s_or_b32 exec_lo, exec_lo, s41
	s_and_saveexec_b32 s41, s15
	s_cbranch_execnz .LBB12_79
.LBB12_47:                              ;   in Loop: Header=BB12_31 Depth=1
	s_or_b32 exec_lo, exec_lo, s41
	s_and_saveexec_b32 s41, s16
	s_cbranch_execnz .LBB12_80
.LBB12_48:                              ;   in Loop: Header=BB12_31 Depth=1
	s_or_b32 exec_lo, exec_lo, s41
	s_and_saveexec_b32 s41, s17
	s_cbranch_execnz .LBB12_81
.LBB12_49:                              ;   in Loop: Header=BB12_31 Depth=1
	s_or_b32 exec_lo, exec_lo, s41
	s_and_saveexec_b32 s41, s18
	s_cbranch_execnz .LBB12_82
.LBB12_50:                              ;   in Loop: Header=BB12_31 Depth=1
	s_or_b32 exec_lo, exec_lo, s41
	s_and_saveexec_b32 s41, s19
	s_cbranch_execnz .LBB12_83
.LBB12_51:                              ;   in Loop: Header=BB12_31 Depth=1
	s_or_b32 exec_lo, exec_lo, s41
	s_and_saveexec_b32 s41, s20
	s_cbranch_execnz .LBB12_84
.LBB12_52:                              ;   in Loop: Header=BB12_31 Depth=1
	s_or_b32 exec_lo, exec_lo, s41
	s_and_saveexec_b32 s41, s21
	s_cbranch_execnz .LBB12_85
.LBB12_53:                              ;   in Loop: Header=BB12_31 Depth=1
	s_or_b32 exec_lo, exec_lo, s41
	s_and_saveexec_b32 s41, s22
	s_cbranch_execnz .LBB12_86
.LBB12_54:                              ;   in Loop: Header=BB12_31 Depth=1
	s_or_b32 exec_lo, exec_lo, s41
	s_and_saveexec_b32 s41, s23
	s_cbranch_execnz .LBB12_87
.LBB12_55:                              ;   in Loop: Header=BB12_31 Depth=1
	s_or_b32 exec_lo, exec_lo, s41
	s_and_saveexec_b32 s41, s24
	s_cbranch_execnz .LBB12_88
.LBB12_56:                              ;   in Loop: Header=BB12_31 Depth=1
	s_or_b32 exec_lo, exec_lo, s41
	s_and_saveexec_b32 s41, s25
	s_cbranch_execnz .LBB12_89
.LBB12_57:                              ;   in Loop: Header=BB12_31 Depth=1
	s_or_b32 exec_lo, exec_lo, s41
	s_and_saveexec_b32 s41, s26
	s_cbranch_execnz .LBB12_90
.LBB12_58:                              ;   in Loop: Header=BB12_31 Depth=1
	s_or_b32 exec_lo, exec_lo, s41
	s_and_saveexec_b32 s41, s27
	s_cbranch_execnz .LBB12_91
.LBB12_59:                              ;   in Loop: Header=BB12_31 Depth=1
	s_or_b32 exec_lo, exec_lo, s41
	s_and_saveexec_b32 s41, s28
	s_cbranch_execnz .LBB12_92
.LBB12_60:                              ;   in Loop: Header=BB12_31 Depth=1
	s_or_b32 exec_lo, exec_lo, s41
	s_and_saveexec_b32 s41, s29
	s_cbranch_execnz .LBB12_93
.LBB12_61:                              ;   in Loop: Header=BB12_31 Depth=1
	s_or_b32 exec_lo, exec_lo, s41
	s_and_saveexec_b32 s41, s30
	s_cbranch_execnz .LBB12_94
.LBB12_62:                              ;   in Loop: Header=BB12_31 Depth=1
	s_or_b32 exec_lo, exec_lo, s41
	s_and_saveexec_b32 s41, s31
	s_cbranch_execnz .LBB12_95
.LBB12_63:                              ;   in Loop: Header=BB12_31 Depth=1
	s_or_b32 exec_lo, exec_lo, s41
	s_and_saveexec_b32 s31, vcc_lo
	s_cbranch_execz .LBB12_30
	s_branch .LBB12_96
.LBB12_64:                              ;   in Loop: Header=BB12_31 Depth=1
	ds_load_b32 v9, v3 offset:8192
	s_wait_dscnt 0x0
	v_add_nc_u32_e32 v8, v9, v8
	s_or_b32 exec_lo, exec_lo, s41
	s_and_saveexec_b32 s41, s1
	s_cbranch_execz .LBB12_33
.LBB12_65:                              ;   in Loop: Header=BB12_31 Depth=1
	ds_load_b32 v9, v3 offset:8196
	s_wait_dscnt 0x0
	v_add_nc_u32_e32 v8, v9, v8
	s_or_b32 exec_lo, exec_lo, s41
	s_and_saveexec_b32 s41, s2
	s_cbranch_execz .LBB12_34
.LBB12_66:                              ;   in Loop: Header=BB12_31 Depth=1
	ds_load_b32 v9, v3 offset:8200
	s_wait_dscnt 0x0
	v_add_nc_u32_e32 v8, v9, v8
	s_or_b32 exec_lo, exec_lo, s41
	s_and_saveexec_b32 s41, s3
	s_cbranch_execz .LBB12_35
.LBB12_67:                              ;   in Loop: Header=BB12_31 Depth=1
	ds_load_b32 v9, v3 offset:8204
	s_wait_dscnt 0x0
	v_add_nc_u32_e32 v8, v9, v8
	s_or_b32 exec_lo, exec_lo, s41
	s_and_saveexec_b32 s41, s4
	s_cbranch_execz .LBB12_36
.LBB12_68:                              ;   in Loop: Header=BB12_31 Depth=1
	ds_load_b32 v9, v3 offset:8208
	s_wait_dscnt 0x0
	v_add_nc_u32_e32 v8, v9, v8
	s_or_b32 exec_lo, exec_lo, s41
	s_and_saveexec_b32 s41, s5
	s_cbranch_execz .LBB12_37
.LBB12_69:                              ;   in Loop: Header=BB12_31 Depth=1
	ds_load_b32 v9, v3 offset:8212
	s_wait_dscnt 0x0
	v_add_nc_u32_e32 v8, v9, v8
	s_or_b32 exec_lo, exec_lo, s41
	s_and_saveexec_b32 s41, s6
	s_cbranch_execz .LBB12_38
.LBB12_70:                              ;   in Loop: Header=BB12_31 Depth=1
	ds_load_b32 v9, v3 offset:8216
	s_wait_dscnt 0x0
	v_add_nc_u32_e32 v8, v9, v8
	s_or_b32 exec_lo, exec_lo, s41
	s_and_saveexec_b32 s41, s7
	s_cbranch_execz .LBB12_39
.LBB12_71:                              ;   in Loop: Header=BB12_31 Depth=1
	ds_load_b32 v9, v3 offset:8220
	s_wait_dscnt 0x0
	v_add_nc_u32_e32 v8, v9, v8
	s_or_b32 exec_lo, exec_lo, s41
	s_and_saveexec_b32 s41, s8
	s_cbranch_execz .LBB12_40
.LBB12_72:                              ;   in Loop: Header=BB12_31 Depth=1
	ds_load_b32 v9, v3 offset:8224
	s_wait_dscnt 0x0
	v_add_nc_u32_e32 v8, v9, v8
	s_or_b32 exec_lo, exec_lo, s41
	s_and_saveexec_b32 s41, s9
	s_cbranch_execz .LBB12_41
.LBB12_73:                              ;   in Loop: Header=BB12_31 Depth=1
	ds_load_b32 v9, v3 offset:8228
	s_wait_dscnt 0x0
	v_add_nc_u32_e32 v8, v9, v8
	s_or_b32 exec_lo, exec_lo, s41
	s_and_saveexec_b32 s41, s10
	s_cbranch_execz .LBB12_42
.LBB12_74:                              ;   in Loop: Header=BB12_31 Depth=1
	ds_load_b32 v9, v3 offset:8232
	s_wait_dscnt 0x0
	v_add_nc_u32_e32 v8, v9, v8
	s_or_b32 exec_lo, exec_lo, s41
	s_and_saveexec_b32 s41, s11
	s_cbranch_execz .LBB12_43
.LBB12_75:                              ;   in Loop: Header=BB12_31 Depth=1
	ds_load_b32 v9, v3 offset:8236
	s_wait_dscnt 0x0
	v_add_nc_u32_e32 v8, v9, v8
	s_or_b32 exec_lo, exec_lo, s41
	s_and_saveexec_b32 s41, s12
	s_cbranch_execz .LBB12_44
.LBB12_76:                              ;   in Loop: Header=BB12_31 Depth=1
	ds_load_b32 v9, v3 offset:8240
	s_wait_dscnt 0x0
	v_add_nc_u32_e32 v8, v9, v8
	s_or_b32 exec_lo, exec_lo, s41
	s_and_saveexec_b32 s41, s13
	s_cbranch_execz .LBB12_45
.LBB12_77:                              ;   in Loop: Header=BB12_31 Depth=1
	ds_load_b32 v9, v3 offset:8244
	s_wait_dscnt 0x0
	v_add_nc_u32_e32 v8, v9, v8
	s_or_b32 exec_lo, exec_lo, s41
	s_and_saveexec_b32 s41, s14
	s_cbranch_execz .LBB12_46
.LBB12_78:                              ;   in Loop: Header=BB12_31 Depth=1
	ds_load_b32 v9, v3 offset:8248
	s_wait_dscnt 0x0
	v_add_nc_u32_e32 v8, v9, v8
	s_or_b32 exec_lo, exec_lo, s41
	s_and_saveexec_b32 s41, s15
	s_cbranch_execz .LBB12_47
.LBB12_79:                              ;   in Loop: Header=BB12_31 Depth=1
	ds_load_b32 v9, v3 offset:8252
	s_wait_dscnt 0x0
	v_add_nc_u32_e32 v8, v9, v8
	s_or_b32 exec_lo, exec_lo, s41
	s_and_saveexec_b32 s41, s16
	s_cbranch_execz .LBB12_48
.LBB12_80:                              ;   in Loop: Header=BB12_31 Depth=1
	ds_load_b32 v9, v3 offset:8256
	s_wait_dscnt 0x0
	v_add_nc_u32_e32 v8, v9, v8
	s_or_b32 exec_lo, exec_lo, s41
	s_and_saveexec_b32 s41, s17
	s_cbranch_execz .LBB12_49
.LBB12_81:                              ;   in Loop: Header=BB12_31 Depth=1
	ds_load_b32 v9, v3 offset:8260
	s_wait_dscnt 0x0
	v_add_nc_u32_e32 v8, v9, v8
	s_or_b32 exec_lo, exec_lo, s41
	s_and_saveexec_b32 s41, s18
	s_cbranch_execz .LBB12_50
.LBB12_82:                              ;   in Loop: Header=BB12_31 Depth=1
	ds_load_b32 v9, v3 offset:8264
	s_wait_dscnt 0x0
	v_add_nc_u32_e32 v8, v9, v8
	s_or_b32 exec_lo, exec_lo, s41
	s_and_saveexec_b32 s41, s19
	s_cbranch_execz .LBB12_51
.LBB12_83:                              ;   in Loop: Header=BB12_31 Depth=1
	ds_load_b32 v9, v3 offset:8268
	s_wait_dscnt 0x0
	v_add_nc_u32_e32 v8, v9, v8
	s_or_b32 exec_lo, exec_lo, s41
	s_and_saveexec_b32 s41, s20
	s_cbranch_execz .LBB12_52
.LBB12_84:                              ;   in Loop: Header=BB12_31 Depth=1
	ds_load_b32 v9, v3 offset:8272
	s_wait_dscnt 0x0
	v_add_nc_u32_e32 v8, v9, v8
	s_or_b32 exec_lo, exec_lo, s41
	s_and_saveexec_b32 s41, s21
	s_cbranch_execz .LBB12_53
.LBB12_85:                              ;   in Loop: Header=BB12_31 Depth=1
	ds_load_b32 v9, v3 offset:8276
	s_wait_dscnt 0x0
	v_add_nc_u32_e32 v8, v9, v8
	s_or_b32 exec_lo, exec_lo, s41
	s_and_saveexec_b32 s41, s22
	s_cbranch_execz .LBB12_54
.LBB12_86:                              ;   in Loop: Header=BB12_31 Depth=1
	ds_load_b32 v9, v3 offset:8280
	s_wait_dscnt 0x0
	v_add_nc_u32_e32 v8, v9, v8
	s_or_b32 exec_lo, exec_lo, s41
	s_and_saveexec_b32 s41, s23
	s_cbranch_execz .LBB12_55
.LBB12_87:                              ;   in Loop: Header=BB12_31 Depth=1
	ds_load_b32 v9, v3 offset:8284
	s_wait_dscnt 0x0
	v_add_nc_u32_e32 v8, v9, v8
	s_or_b32 exec_lo, exec_lo, s41
	s_and_saveexec_b32 s41, s24
	s_cbranch_execz .LBB12_56
.LBB12_88:                              ;   in Loop: Header=BB12_31 Depth=1
	ds_load_b32 v9, v3 offset:8288
	s_wait_dscnt 0x0
	v_add_nc_u32_e32 v8, v9, v8
	s_or_b32 exec_lo, exec_lo, s41
	s_and_saveexec_b32 s41, s25
	s_cbranch_execz .LBB12_57
.LBB12_89:                              ;   in Loop: Header=BB12_31 Depth=1
	ds_load_b32 v9, v3 offset:8292
	s_wait_dscnt 0x0
	v_add_nc_u32_e32 v8, v9, v8
	s_or_b32 exec_lo, exec_lo, s41
	s_and_saveexec_b32 s41, s26
	s_cbranch_execz .LBB12_58
.LBB12_90:                              ;   in Loop: Header=BB12_31 Depth=1
	ds_load_b32 v9, v3 offset:8296
	s_wait_dscnt 0x0
	v_add_nc_u32_e32 v8, v9, v8
	s_or_b32 exec_lo, exec_lo, s41
	s_and_saveexec_b32 s41, s27
	s_cbranch_execz .LBB12_59
.LBB12_91:                              ;   in Loop: Header=BB12_31 Depth=1
	ds_load_b32 v9, v3 offset:8300
	s_wait_dscnt 0x0
	v_add_nc_u32_e32 v8, v9, v8
	s_or_b32 exec_lo, exec_lo, s41
	s_and_saveexec_b32 s41, s28
	s_cbranch_execz .LBB12_60
.LBB12_92:                              ;   in Loop: Header=BB12_31 Depth=1
	ds_load_b32 v9, v3 offset:8304
	s_wait_dscnt 0x0
	v_add_nc_u32_e32 v8, v9, v8
	s_or_b32 exec_lo, exec_lo, s41
	s_and_saveexec_b32 s41, s29
	s_cbranch_execz .LBB12_61
.LBB12_93:                              ;   in Loop: Header=BB12_31 Depth=1
	ds_load_b32 v9, v3 offset:8308
	s_wait_dscnt 0x0
	v_add_nc_u32_e32 v8, v9, v8
	s_or_b32 exec_lo, exec_lo, s41
	s_and_saveexec_b32 s41, s30
	s_cbranch_execz .LBB12_62
.LBB12_94:                              ;   in Loop: Header=BB12_31 Depth=1
	ds_load_b32 v9, v3 offset:8312
	s_wait_dscnt 0x0
	v_add_nc_u32_e32 v8, v9, v8
	s_or_b32 exec_lo, exec_lo, s41
	s_and_saveexec_b32 s41, s31
	s_cbranch_execz .LBB12_63
.LBB12_95:                              ;   in Loop: Header=BB12_31 Depth=1
	s_delay_alu instid0(VALU_DEP_1) | instskip(NEXT) | instid1(VALU_DEP_1)
	v_dual_lshlrev_b32 v9, 2, v6 :: v_dual_lshlrev_b32 v10, 2, v8
	v_add_nc_u32_e32 v9, 0, v9
	s_delay_alu instid0(VALU_DEP_1)
	v_add3_u32 v9, v9, v10, -4
	ds_store_b32 v9, v7
	s_or_b32 exec_lo, exec_lo, s41
	s_and_saveexec_b32 s31, vcc_lo
	s_cbranch_execz .LBB12_30
.LBB12_96:                              ;   in Loop: Header=BB12_31 Depth=1
	ds_store_b32 v3, v8 offset:8316
	s_branch .LBB12_30
.LBB12_97:
	s_or_b32 exec_lo, exec_lo, s39
	s_ashr_i32 s41, s40, 31
	s_delay_alu instid0(SALU_CYCLE_1)
	s_lshl_b64 s[0:1], s[40:41], 2
	s_wait_kmcnt 0x0
	s_add_nc_u64 s[2:3], s[36:37], s[0:1]
	s_load_b64 s[0:1], s[2:3], 0x0
	s_wait_kmcnt 0x0
	s_sub_co_i32 s4, s1, s0
	s_mov_b32 s1, exec_lo
	v_cmpx_gt_i32_e64 s4, v0
	s_cbranch_execz .LBB12_111
; %bb.98:
	v_sub_co_u32 v1, s1, s4, 2
	s_sub_co_i32 s2, s0, s38
	s_xor_b32 s6, s1, -1
	s_and_b32 s5, s4, -2
	v_readfirstlane_b32 s3, v1
	s_lshr_b32 s0, s3, 1
	s_mov_b32 s3, 0
	s_add_co_i32 s0, s0, 1
	s_mov_b32 s11, s3
	s_and_b32 s1, s0, 7
	s_and_b32 s7, s0, -8
	s_cmp_lg_u32 s1, 0
	v_cmp_lt_u32_e64 s0, 13, v1
	s_cselect_b32 s8, -1, 0
	s_cmp_lg_u32 s4, s5
	s_cselect_b32 s9, -1, 0
	s_lshl_b32 s10, s1, 3
	s_branch .LBB12_100
.LBB12_99:                              ;   in Loop: Header=BB12_100 Depth=1
	v_add_nc_u32_e32 v0, 0x400, v0
	s_wait_dscnt 0x0
	v_add_nc_u32_e32 v1, s38, v1
	s_delay_alu instid0(VALU_DEP_2)
	v_cmp_le_i32_e32 vcc_lo, s4, v0
	global_store_b32 v2, v1, s[34:35] scale_offset
	s_or_b32 s11, vcc_lo, s11
	s_wait_xcnt 0x0
	s_and_not1_b32 exec_lo, exec_lo, s11
	s_cbranch_execz .LBB12_111
.LBB12_100:                             ; =>This Loop Header: Depth=1
                                        ;     Child Loop BB12_103 Depth 2
                                        ;     Child Loop BB12_106 Depth 2
	;; [unrolled: 1-line block ×3, first 2 shown]
	v_lshl_add_u32 v1, v0, 2, 0
	v_mov_b32_e32 v2, s2
	s_and_not1_b32 vcc_lo, exec_lo, s6
	s_mov_b32 s1, 0
	s_mov_b32 s12, -1
	ds_load_b32 v1, v1
	s_cbranch_vccnz .LBB12_108
; %bb.101:                              ;   in Loop: Header=BB12_100 Depth=1
	v_mov_b64_e32 v[2:3], s[2:3]
	s_and_not1_b32 vcc_lo, exec_lo, s0
	s_mov_b32 s12, 0
	s_cbranch_vccnz .LBB12_104
; %bb.102:                              ;   in Loop: Header=BB12_100 Depth=1
	v_dual_mov_b32 v2, s2 :: v_dual_mov_b32 v3, 0
	s_mov_b32 s13, 0
	s_mov_b32 s14, s7
.LBB12_103:                             ;   Parent Loop BB12_100 Depth=1
                                        ; =>  This Inner Loop Header: Depth=2
	v_mov_b32_e32 v18, s13
	s_add_co_i32 s14, s14, -8
	s_add_co_i32 s12, s12, 16
	s_add_co_i32 s13, s13, 64
	s_cmp_lg_u32 s14, 0
	ds_load_2addr_b32 v[4:5], v18 offset1:1
	ds_load_2addr_b32 v[6:7], v18 offset0:2 offset1:3
	ds_load_2addr_b32 v[8:9], v18 offset0:4 offset1:5
	;; [unrolled: 1-line block ×7, first 2 shown]
	s_wait_dscnt 0x7
	v_cmp_gt_i32_e32 vcc_lo, v1, v5
	s_wait_dscnt 0x5
	v_cmp_gt_i32_e64 s1, v1, v8
	v_cndmask_b32_e64 v5, 0, 1, vcc_lo
	v_cmp_gt_i32_e32 vcc_lo, v1, v4
	v_cndmask_b32_e64 v4, 0, 1, vcc_lo
	v_cmp_gt_i32_e32 vcc_lo, v1, v6
	v_cndmask_b32_e64 v6, 0, 1, s1
	v_cmp_gt_i32_e64 s1, v1, v9
	s_delay_alu instid0(VALU_DEP_4) | instskip(NEXT) | instid1(VALU_DEP_2)
	v_add_co_ci_u32_e64 v2, null, v2, v4, vcc_lo
	v_cndmask_b32_e64 v8, 0, 1, s1
	s_wait_dscnt 0x4
	v_cmp_gt_i32_e64 s1, v1, v11
	s_wait_dscnt 0x2
	v_cmp_gt_i32_e32 vcc_lo, v1, v14
	s_delay_alu instid0(VALU_DEP_2) | instskip(SKIP_4) | instid1(VALU_DEP_3)
	v_cndmask_b32_e64 v9, 0, 1, s1
	v_cmp_gt_i32_e64 s1, v1, v10
	v_add_co_ci_u32_e64 v2, null, v2, v6, vcc_lo
	s_wait_dscnt 0x1
	v_cmp_gt_i32_e32 vcc_lo, v1, v16
	v_cndmask_b32_e64 v10, 0, 1, s1
	v_cmp_gt_i32_e64 s1, v1, v12
	s_delay_alu instid0(VALU_DEP_2) | instskip(NEXT) | instid1(VALU_DEP_2)
	v_add_co_ci_u32_e64 v2, null, v2, v10, vcc_lo
	v_cndmask_b32_e64 v11, 0, 1, s1
	v_cmp_gt_i32_e64 s1, v1, v13
	s_wait_dscnt 0x0
	v_cmp_gt_i32_e32 vcc_lo, v1, v18
	s_delay_alu instid0(VALU_DEP_2) | instskip(SKIP_2) | instid1(VALU_DEP_2)
	v_cndmask_b32_e64 v12, 0, 1, s1
	v_cmp_gt_i32_e64 s1, v1, v7
	v_add_co_ci_u32_e64 v2, null, v2, v11, vcc_lo
	v_add_co_ci_u32_e64 v3, null, v3, v5, s1
	v_cmp_gt_i32_e64 s1, v1, v15
	s_delay_alu instid0(VALU_DEP_1) | instskip(SKIP_1) | instid1(VALU_DEP_1)
	v_add_co_ci_u32_e64 v3, null, v3, v8, s1
	v_cmp_gt_i32_e64 s1, v1, v17
	v_add_co_ci_u32_e64 v3, null, v3, v9, s1
	v_cmp_gt_i32_e64 s1, v1, v19
	s_delay_alu instid0(VALU_DEP_1)
	v_add_co_ci_u32_e64 v3, null, v3, v12, s1
	s_cbranch_scc1 .LBB12_103
.LBB12_104:                             ;   in Loop: Header=BB12_100 Depth=1
	s_and_not1_b32 vcc_lo, exec_lo, s8
	s_cbranch_vccnz .LBB12_107
; %bb.105:                              ;   in Loop: Header=BB12_100 Depth=1
	s_lshl_b32 s1, s12, 2
	s_mov_b32 s12, s10
	s_add_co_i32 s1, s1, 0
.LBB12_106:                             ;   Parent Loop BB12_100 Depth=1
                                        ; =>  This Inner Loop Header: Depth=2
	s_delay_alu instid0(SALU_CYCLE_1)
	v_mov_b32_e32 v4, s1
	s_add_co_i32 s12, s12, -8
	s_add_co_i32 s1, s1, 8
	s_cmp_lg_u32 s12, 0
	ds_load_2addr_b32 v[4:5], v4 offset1:1
	s_wait_dscnt 0x0
	v_cmp_gt_i32_e32 vcc_lo, v1, v5
	v_add_co_ci_u32_e64 v3, null, 0, v3, vcc_lo
	v_cmp_gt_i32_e32 vcc_lo, v1, v4
	v_add_co_ci_u32_e64 v2, null, 0, v2, vcc_lo
	s_cbranch_scc1 .LBB12_106
.LBB12_107:                             ;   in Loop: Header=BB12_100 Depth=1
	s_delay_alu instid0(VALU_DEP_1)
	v_add_nc_u32_e32 v2, v2, v3
	s_mov_b32 s1, s5
	s_mov_b32 s12, s9
.LBB12_108:                             ;   in Loop: Header=BB12_100 Depth=1
	s_delay_alu instid0(SALU_CYCLE_1)
	s_and_b32 vcc_lo, exec_lo, s12
	s_cbranch_vccz .LBB12_99
; %bb.109:                              ;   in Loop: Header=BB12_100 Depth=1
	s_lshl_b32 s12, s1, 2
	s_delay_alu instid0(SALU_CYCLE_1)
	s_add_co_i32 s12, s12, 0
.LBB12_110:                             ;   Parent Loop BB12_100 Depth=1
                                        ; =>  This Inner Loop Header: Depth=2
	s_delay_alu instid0(SALU_CYCLE_1)
	v_mov_b32_e32 v3, s12
	s_add_co_i32 s1, s1, 1
	s_add_co_i32 s12, s12, 4
	s_cmp_ge_i32 s1, s4
	ds_load_b32 v3, v3
	s_wait_dscnt 0x0
	v_cmp_gt_i32_e32 vcc_lo, v1, v3
	v_add_co_ci_u32_e64 v2, null, 0, v2, vcc_lo
	s_cbranch_scc0 .LBB12_110
	s_branch .LBB12_99
.LBB12_111:
	s_endpgm
	.section	.rodata,"a",@progbits
	.p2align	6, 0x0
	.amdhsa_kernel _ZN9rocsparseL35csrgemm_symbolic_fill_block_per_rowILj1024ELj32ELj2048ELj137ELj32EiiEEvT5_PKS1_S3_PKT4_S3_S6_S3_S6_S3_S6_PS1_21rocsparse_index_base_S8_S8_S8_bb
		.amdhsa_group_segment_fixed_size 0
		.amdhsa_private_segment_fixed_size 0
		.amdhsa_kernarg_size 108
		.amdhsa_user_sgpr_count 2
		.amdhsa_user_sgpr_dispatch_ptr 0
		.amdhsa_user_sgpr_queue_ptr 0
		.amdhsa_user_sgpr_kernarg_segment_ptr 1
		.amdhsa_user_sgpr_dispatch_id 0
		.amdhsa_user_sgpr_kernarg_preload_length 0
		.amdhsa_user_sgpr_kernarg_preload_offset 0
		.amdhsa_user_sgpr_private_segment_size 0
		.amdhsa_wavefront_size32 1
		.amdhsa_uses_dynamic_stack 0
		.amdhsa_enable_private_segment 0
		.amdhsa_system_sgpr_workgroup_id_x 1
		.amdhsa_system_sgpr_workgroup_id_y 0
		.amdhsa_system_sgpr_workgroup_id_z 0
		.amdhsa_system_sgpr_workgroup_info 0
		.amdhsa_system_vgpr_workitem_id 0
		.amdhsa_next_free_vgpr 20
		.amdhsa_next_free_sgpr 42
		.amdhsa_named_barrier_count 0
		.amdhsa_reserve_vcc 1
		.amdhsa_float_round_mode_32 0
		.amdhsa_float_round_mode_16_64 0
		.amdhsa_float_denorm_mode_32 3
		.amdhsa_float_denorm_mode_16_64 3
		.amdhsa_fp16_overflow 0
		.amdhsa_memory_ordered 1
		.amdhsa_forward_progress 1
		.amdhsa_inst_pref_size 30
		.amdhsa_round_robin_scheduling 0
		.amdhsa_exception_fp_ieee_invalid_op 0
		.amdhsa_exception_fp_denorm_src 0
		.amdhsa_exception_fp_ieee_div_zero 0
		.amdhsa_exception_fp_ieee_overflow 0
		.amdhsa_exception_fp_ieee_underflow 0
		.amdhsa_exception_fp_ieee_inexact 0
		.amdhsa_exception_int_div_zero 0
	.end_amdhsa_kernel
	.section	.text._ZN9rocsparseL35csrgemm_symbolic_fill_block_per_rowILj1024ELj32ELj2048ELj137ELj32EiiEEvT5_PKS1_S3_PKT4_S3_S6_S3_S6_S3_S6_PS1_21rocsparse_index_base_S8_S8_S8_bb,"axG",@progbits,_ZN9rocsparseL35csrgemm_symbolic_fill_block_per_rowILj1024ELj32ELj2048ELj137ELj32EiiEEvT5_PKS1_S3_PKT4_S3_S6_S3_S6_S3_S6_PS1_21rocsparse_index_base_S8_S8_S8_bb,comdat
.Lfunc_end12:
	.size	_ZN9rocsparseL35csrgemm_symbolic_fill_block_per_rowILj1024ELj32ELj2048ELj137ELj32EiiEEvT5_PKS1_S3_PKT4_S3_S6_S3_S6_S3_S6_PS1_21rocsparse_index_base_S8_S8_S8_bb, .Lfunc_end12-_ZN9rocsparseL35csrgemm_symbolic_fill_block_per_rowILj1024ELj32ELj2048ELj137ELj32EiiEEvT5_PKS1_S3_PKT4_S3_S6_S3_S6_S3_S6_PS1_21rocsparse_index_base_S8_S8_S8_bb
                                        ; -- End function
	.set _ZN9rocsparseL35csrgemm_symbolic_fill_block_per_rowILj1024ELj32ELj2048ELj137ELj32EiiEEvT5_PKS1_S3_PKT4_S3_S6_S3_S6_S3_S6_PS1_21rocsparse_index_base_S8_S8_S8_bb.num_vgpr, 20
	.set _ZN9rocsparseL35csrgemm_symbolic_fill_block_per_rowILj1024ELj32ELj2048ELj137ELj32EiiEEvT5_PKS1_S3_PKT4_S3_S6_S3_S6_S3_S6_PS1_21rocsparse_index_base_S8_S8_S8_bb.num_agpr, 0
	.set _ZN9rocsparseL35csrgemm_symbolic_fill_block_per_rowILj1024ELj32ELj2048ELj137ELj32EiiEEvT5_PKS1_S3_PKT4_S3_S6_S3_S6_S3_S6_PS1_21rocsparse_index_base_S8_S8_S8_bb.numbered_sgpr, 42
	.set _ZN9rocsparseL35csrgemm_symbolic_fill_block_per_rowILj1024ELj32ELj2048ELj137ELj32EiiEEvT5_PKS1_S3_PKT4_S3_S6_S3_S6_S3_S6_PS1_21rocsparse_index_base_S8_S8_S8_bb.num_named_barrier, 0
	.set _ZN9rocsparseL35csrgemm_symbolic_fill_block_per_rowILj1024ELj32ELj2048ELj137ELj32EiiEEvT5_PKS1_S3_PKT4_S3_S6_S3_S6_S3_S6_PS1_21rocsparse_index_base_S8_S8_S8_bb.private_seg_size, 0
	.set _ZN9rocsparseL35csrgemm_symbolic_fill_block_per_rowILj1024ELj32ELj2048ELj137ELj32EiiEEvT5_PKS1_S3_PKT4_S3_S6_S3_S6_S3_S6_PS1_21rocsparse_index_base_S8_S8_S8_bb.uses_vcc, 1
	.set _ZN9rocsparseL35csrgemm_symbolic_fill_block_per_rowILj1024ELj32ELj2048ELj137ELj32EiiEEvT5_PKS1_S3_PKT4_S3_S6_S3_S6_S3_S6_PS1_21rocsparse_index_base_S8_S8_S8_bb.uses_flat_scratch, 0
	.set _ZN9rocsparseL35csrgemm_symbolic_fill_block_per_rowILj1024ELj32ELj2048ELj137ELj32EiiEEvT5_PKS1_S3_PKT4_S3_S6_S3_S6_S3_S6_PS1_21rocsparse_index_base_S8_S8_S8_bb.has_dyn_sized_stack, 0
	.set _ZN9rocsparseL35csrgemm_symbolic_fill_block_per_rowILj1024ELj32ELj2048ELj137ELj32EiiEEvT5_PKS1_S3_PKT4_S3_S6_S3_S6_S3_S6_PS1_21rocsparse_index_base_S8_S8_S8_bb.has_recursion, 0
	.set _ZN9rocsparseL35csrgemm_symbolic_fill_block_per_rowILj1024ELj32ELj2048ELj137ELj32EiiEEvT5_PKS1_S3_PKT4_S3_S6_S3_S6_S3_S6_PS1_21rocsparse_index_base_S8_S8_S8_bb.has_indirect_call, 0
	.section	.AMDGPU.csdata,"",@progbits
; Kernel info:
; codeLenInByte = 3756
; TotalNumSgprs: 44
; NumVgprs: 20
; ScratchSize: 0
; MemoryBound: 0
; FloatMode: 240
; IeeeMode: 1
; LDSByteSize: 0 bytes/workgroup (compile time only)
; SGPRBlocks: 0
; VGPRBlocks: 1
; NumSGPRsForWavesPerEU: 44
; NumVGPRsForWavesPerEU: 20
; NamedBarCnt: 0
; Occupancy: 16
; WaveLimiterHint : 1
; COMPUTE_PGM_RSRC2:SCRATCH_EN: 0
; COMPUTE_PGM_RSRC2:USER_SGPR: 2
; COMPUTE_PGM_RSRC2:TRAP_HANDLER: 0
; COMPUTE_PGM_RSRC2:TGID_X_EN: 1
; COMPUTE_PGM_RSRC2:TGID_Y_EN: 0
; COMPUTE_PGM_RSRC2:TGID_Z_EN: 0
; COMPUTE_PGM_RSRC2:TIDIG_COMP_CNT: 0
	.section	.text._ZN9rocsparseL35csrgemm_symbolic_fill_block_per_rowILj1024ELj32ELj2048ELj137ELj64EiiEEvT5_PKS1_S3_PKT4_S3_S6_S3_S6_S3_S6_PS1_21rocsparse_index_base_S8_S8_S8_bb,"axG",@progbits,_ZN9rocsparseL35csrgemm_symbolic_fill_block_per_rowILj1024ELj32ELj2048ELj137ELj64EiiEEvT5_PKS1_S3_PKT4_S3_S6_S3_S6_S3_S6_PS1_21rocsparse_index_base_S8_S8_S8_bb,comdat
	.globl	_ZN9rocsparseL35csrgemm_symbolic_fill_block_per_rowILj1024ELj32ELj2048ELj137ELj64EiiEEvT5_PKS1_S3_PKT4_S3_S6_S3_S6_S3_S6_PS1_21rocsparse_index_base_S8_S8_S8_bb ; -- Begin function _ZN9rocsparseL35csrgemm_symbolic_fill_block_per_rowILj1024ELj32ELj2048ELj137ELj64EiiEEvT5_PKS1_S3_PKT4_S3_S6_S3_S6_S3_S6_PS1_21rocsparse_index_base_S8_S8_S8_bb
	.p2align	8
	.type	_ZN9rocsparseL35csrgemm_symbolic_fill_block_per_rowILj1024ELj32ELj2048ELj137ELj64EiiEEvT5_PKS1_S3_PKT4_S3_S6_S3_S6_S3_S6_PS1_21rocsparse_index_base_S8_S8_S8_bb,@function
_ZN9rocsparseL35csrgemm_symbolic_fill_block_per_rowILj1024ELj32ELj2048ELj137ELj64EiiEEvT5_PKS1_S3_PKT4_S3_S6_S3_S6_S3_S6_PS1_21rocsparse_index_base_S8_S8_S8_bb: ; @_ZN9rocsparseL35csrgemm_symbolic_fill_block_per_rowILj1024ELj32ELj2048ELj137ELj64EiiEEvT5_PKS1_S3_PKT4_S3_S6_S3_S6_S3_S6_PS1_21rocsparse_index_base_S8_S8_S8_bb
; %bb.0:
	s_clause 0x1
	s_load_b32 s24, s[0:1], 0x0
	s_load_b128 s[4:7], s[0:1], 0x8
	v_lshl_add_u32 v1, v0, 2, 0
	s_bfe_u32 s3, ttmp6, 0x4000c
	s_load_b32 s8, s[0:1], 0x68
	s_add_co_i32 s3, s3, 1
	s_delay_alu instid0(SALU_CYCLE_1)
	s_mul_i32 s3, ttmp9, s3
	s_wait_kmcnt 0x0
	v_dual_mov_b32 v2, s24 :: v_dual_mov_b32 v3, s24
	ds_store_2addr_stride64_b32 v1, v2, v3 offset1:16
	s_wait_dscnt 0x0
	s_barrier_signal -1
	s_barrier_wait -1
	s_load_b32 s2, s[4:5], 0x0
	s_wait_xcnt 0x0
	s_and_b32 s4, ttmp6, 15
	s_getreg_b32 s5, hwreg(HW_REG_IB_STS2, 6, 4)
	s_add_co_i32 s4, s4, s3
	s_cmp_eq_u32 s5, 0
	s_cselect_b32 s3, ttmp9, s4
	s_wait_kmcnt 0x0
	s_add_co_i32 s2, s2, s3
	s_load_b128 s[16:19], s[0:1], 0x58
	s_load_b32 s20, s[6:7], s2 offset:0x0 scale_offset
	s_bitcmp0_b32 s8, 0
	s_cbranch_scc1 .LBB13_16
; %bb.1:
	s_wait_xcnt 0x0
	s_load_b64 s[2:3], s[0:1], 0x18
	s_wait_kmcnt 0x0
	s_ashr_i32 s21, s20, 31
	v_lshrrev_b32_e32 v2, 5, v0
	s_lshl_b64 s[4:5], s[20:21], 2
	s_mov_b32 s10, exec_lo
	s_delay_alu instid0(VALU_DEP_1) | instskip(SKIP_3) | instid1(VALU_DEP_1)
	v_subrev_nc_u32_e32 v2, s16, v2
	s_add_nc_u64 s[2:3], s[2:3], s[4:5]
	s_load_b64 s[4:5], s[2:3], 0x0
	s_wait_kmcnt 0x0
	v_add_nc_u32_e32 v2, s4, v2
	s_sub_co_i32 s9, s5, s16
	s_delay_alu instid0(VALU_DEP_1) | instid1(SALU_CYCLE_1)
	v_cmpx_gt_i32_e64 s9, v2
	s_cbranch_execz .LBB13_15
; %bb.2:
	s_clause 0x1
	s_load_b128 s[4:7], s[0:1], 0x20
	s_load_b64 s[2:3], s[0:1], 0x30
	v_and_b32_e32 v3, 31, v0
	s_mov_b32 s11, 0
	s_delay_alu instid0(VALU_DEP_1)
	v_subrev_nc_u32_e32 v3, s17, v3
	s_branch .LBB13_4
.LBB13_3:                               ;   in Loop: Header=BB13_4 Depth=1
	s_or_b32 exec_lo, exec_lo, s12
	v_add_nc_u32_e32 v2, 32, v2
	s_delay_alu instid0(VALU_DEP_1) | instskip(SKIP_1) | instid1(SALU_CYCLE_1)
	v_cmp_le_i32_e32 vcc_lo, s9, v2
	s_or_b32 s11, vcc_lo, s11
	s_and_not1_b32 exec_lo, exec_lo, s11
	s_cbranch_execz .LBB13_15
.LBB13_4:                               ; =>This Loop Header: Depth=1
                                        ;     Child Loop BB13_7 Depth 2
                                        ;       Child Loop BB13_10 Depth 3
	s_wait_kmcnt 0x0
	global_load_b32 v4, v2, s[4:5] scale_offset
	s_mov_b32 s12, exec_lo
	s_wait_loadcnt 0x0
	v_subrev_nc_u32_e32 v4, s16, v4
	s_delay_alu instid0(VALU_DEP_1) | instskip(NEXT) | instid1(VALU_DEP_1)
	v_ashrrev_i32_e32 v5, 31, v4
	v_lshl_add_u64 v[4:5], v[4:5], 2, s[6:7]
	global_load_b64 v[6:7], v[4:5], off
	s_wait_loadcnt 0x0
	v_subrev_nc_u32_e32 v4, s17, v7
	v_add_nc_u32_e32 v5, v6, v3
	s_delay_alu instid0(VALU_DEP_1)
	v_cmpx_lt_i32_e64 v5, v4
	s_cbranch_execz .LBB13_3
; %bb.5:                                ;   in Loop: Header=BB13_4 Depth=1
	s_mov_b32 s13, 0
	s_branch .LBB13_7
.LBB13_6:                               ;   in Loop: Header=BB13_7 Depth=2
	s_or_b32 exec_lo, exec_lo, s14
	v_add_nc_u32_e32 v5, 32, v5
	s_delay_alu instid0(VALU_DEP_1) | instskip(SKIP_1) | instid1(SALU_CYCLE_1)
	v_cmp_ge_i32_e32 vcc_lo, v5, v4
	s_or_b32 s13, vcc_lo, s13
	s_and_not1_b32 exec_lo, exec_lo, s13
	s_cbranch_execz .LBB13_3
.LBB13_7:                               ;   Parent Loop BB13_4 Depth=1
                                        ; =>  This Loop Header: Depth=2
                                        ;       Child Loop BB13_10 Depth 3
	global_load_b32 v6, v5, s[2:3] scale_offset
	s_mov_b32 s14, 0
                                        ; implicit-def: $sgpr15
	s_wait_loadcnt 0x0
	v_subrev_nc_u32_e32 v6, s17, v6
	s_delay_alu instid0(VALU_DEP_1) | instskip(NEXT) | instid1(VALU_DEP_1)
	v_mul_lo_u32 v7, 0x89, v6
	v_and_b32_e32 v7, 0x7ff, v7
	s_branch .LBB13_10
.LBB13_8:                               ;   in Loop: Header=BB13_10 Depth=3
	s_or_b32 exec_lo, exec_lo, s22
	s_delay_alu instid0(SALU_CYCLE_1) | instskip(SKIP_1) | instid1(SALU_CYCLE_1)
	s_and_not1_b32 s15, s15, exec_lo
	s_and_b32 s22, s23, exec_lo
	s_or_b32 s15, s15, s22
.LBB13_9:                               ;   in Loop: Header=BB13_10 Depth=3
	s_or_b32 exec_lo, exec_lo, s21
	s_xor_b32 s21, s15, -1
	s_delay_alu instid0(SALU_CYCLE_1) | instskip(NEXT) | instid1(SALU_CYCLE_1)
	s_and_b32 s21, exec_lo, s21
	s_or_b32 s14, s21, s14
	s_delay_alu instid0(SALU_CYCLE_1)
	s_and_not1_b32 exec_lo, exec_lo, s14
	s_cbranch_execz .LBB13_6
.LBB13_10:                              ;   Parent Loop BB13_4 Depth=1
                                        ;     Parent Loop BB13_7 Depth=2
                                        ; =>    This Inner Loop Header: Depth=3
	s_delay_alu instid0(VALU_DEP_1)
	v_lshl_add_u32 v8, v7, 2, 0
	s_and_not1_b32 s15, s15, exec_lo
	s_mov_b32 s21, exec_lo
	ds_load_b32 v9, v8
	s_wait_dscnt 0x0
	v_cmpx_ne_u32_e64 v9, v6
	s_cbranch_execz .LBB13_9
; %bb.11:                               ;   in Loop: Header=BB13_10 Depth=3
	s_mov_b32 s22, exec_lo
	v_cmpx_ne_u32_e64 s24, v9
	s_xor_b32 s22, exec_lo, s22
; %bb.12:                               ;   in Loop: Header=BB13_10 Depth=3
	v_add_nc_u32_e32 v7, 1, v7
                                        ; implicit-def: $vgpr8
	s_delay_alu instid0(VALU_DEP_1)
	v_and_b32_e32 v7, 0x7ff, v7
; %bb.13:                               ;   in Loop: Header=BB13_10 Depth=3
	s_or_saveexec_b32 s22, s22
	s_mov_b32 s23, -1
	s_xor_b32 exec_lo, exec_lo, s22
	s_cbranch_execz .LBB13_8
; %bb.14:                               ;   in Loop: Header=BB13_10 Depth=3
	v_mov_b32_e32 v9, s24
	ds_cmpstore_rtn_b32 v8, v8, v6, v9
	s_wait_dscnt 0x0
	v_cmp_ne_u32_e32 vcc_lo, s24, v8
	s_or_not1_b32 s23, vcc_lo, exec_lo
	s_branch .LBB13_8
.LBB13_15:
	s_or_b32 exec_lo, exec_lo, s10
.LBB13_16:
	s_wait_kmcnt 0x0
	s_load_b64 s[16:17], s[0:1], 0x50
	s_bfe_u32 s2, s8, 0x10008
	s_delay_alu instid0(SALU_CYCLE_1)
	s_cmp_eq_u32 s2, 0
	s_cbranch_scc1 .LBB13_29
; %bb.17:
	s_load_b64 s[2:3], s[0:1], 0x38
	s_ashr_i32 s21, s20, 31
	v_subrev_nc_u32_e32 v2, s19, v0
	s_lshl_b64 s[4:5], s[20:21], 2
	s_wait_kmcnt 0x0
	s_add_nc_u64 s[2:3], s[2:3], s[4:5]
	s_load_b64 s[4:5], s[2:3], 0x0
	s_wait_kmcnt 0x0
	v_add_nc_u32_e32 v2, s4, v2
	s_sub_co_i32 s4, s5, s19
	s_mov_b32 s5, exec_lo
	s_delay_alu instid0(VALU_DEP_1)
	v_cmpx_gt_i32_e64 s4, v2
	s_cbranch_execz .LBB13_28
; %bb.18:
	s_load_b64 s[2:3], s[0:1], 0x40
	s_mov_b32 s6, 0
	s_branch .LBB13_20
.LBB13_19:                              ;   in Loop: Header=BB13_20 Depth=1
	s_or_b32 exec_lo, exec_lo, s7
	v_add_nc_u32_e32 v2, 0x400, v2
	s_delay_alu instid0(VALU_DEP_1) | instskip(SKIP_1) | instid1(SALU_CYCLE_1)
	v_cmp_le_i32_e32 vcc_lo, s4, v2
	s_or_b32 s6, vcc_lo, s6
	s_and_not1_b32 exec_lo, exec_lo, s6
	s_cbranch_execz .LBB13_28
.LBB13_20:                              ; =>This Loop Header: Depth=1
                                        ;     Child Loop BB13_23 Depth 2
	s_wait_kmcnt 0x0
	global_load_b32 v3, v2, s[2:3] scale_offset
	s_mov_b32 s7, 0
                                        ; implicit-def: $sgpr8
	s_wait_loadcnt 0x0
	v_subrev_nc_u32_e32 v3, s19, v3
	s_delay_alu instid0(VALU_DEP_1) | instskip(NEXT) | instid1(VALU_DEP_1)
	v_mul_lo_u32 v4, 0x89, v3
	v_and_b32_e32 v4, 0x7ff, v4
	s_branch .LBB13_23
.LBB13_21:                              ;   in Loop: Header=BB13_23 Depth=2
	s_or_b32 exec_lo, exec_lo, s10
	s_delay_alu instid0(SALU_CYCLE_1) | instskip(SKIP_1) | instid1(SALU_CYCLE_1)
	s_and_not1_b32 s8, s8, exec_lo
	s_and_b32 s10, s11, exec_lo
	s_or_b32 s8, s8, s10
.LBB13_22:                              ;   in Loop: Header=BB13_23 Depth=2
	s_or_b32 exec_lo, exec_lo, s9
	s_xor_b32 s9, s8, -1
	s_delay_alu instid0(SALU_CYCLE_1) | instskip(NEXT) | instid1(SALU_CYCLE_1)
	s_and_b32 s9, exec_lo, s9
	s_or_b32 s7, s9, s7
	s_delay_alu instid0(SALU_CYCLE_1)
	s_and_not1_b32 exec_lo, exec_lo, s7
	s_cbranch_execz .LBB13_19
.LBB13_23:                              ;   Parent Loop BB13_20 Depth=1
                                        ; =>  This Inner Loop Header: Depth=2
	s_delay_alu instid0(VALU_DEP_1)
	v_lshl_add_u32 v5, v4, 2, 0
	s_and_not1_b32 s8, s8, exec_lo
	s_mov_b32 s9, exec_lo
	ds_load_b32 v6, v5
	s_wait_dscnt 0x0
	v_cmpx_ne_u32_e64 v6, v3
	s_cbranch_execz .LBB13_22
; %bb.24:                               ;   in Loop: Header=BB13_23 Depth=2
	s_mov_b32 s10, exec_lo
	v_cmpx_ne_u32_e64 s24, v6
	s_xor_b32 s10, exec_lo, s10
; %bb.25:                               ;   in Loop: Header=BB13_23 Depth=2
	v_add_nc_u32_e32 v4, 1, v4
                                        ; implicit-def: $vgpr5
	s_delay_alu instid0(VALU_DEP_1)
	v_and_b32_e32 v4, 0x7ff, v4
; %bb.26:                               ;   in Loop: Header=BB13_23 Depth=2
	s_or_saveexec_b32 s10, s10
	s_mov_b32 s11, -1
	s_xor_b32 exec_lo, exec_lo, s10
	s_cbranch_execz .LBB13_21
; %bb.27:                               ;   in Loop: Header=BB13_23 Depth=2
	v_mov_b32_e32 v6, s24
	ds_cmpstore_rtn_b32 v5, v5, v3, v6
	s_wait_dscnt 0x0
	v_cmp_ne_u32_e32 vcc_lo, s24, v5
	s_or_not1_b32 s11, vcc_lo, exec_lo
	s_branch .LBB13_21
.LBB13_28:
	s_or_b32 exec_lo, exec_lo, s5
.LBB13_29:
	s_load_b64 s[22:23], s[0:1], 0x48
	v_mbcnt_lo_u32_b32 v2, -1, 0
	v_lshrrev_b32_e32 v3, 4, v0
	s_wait_xcnt 0x0
	v_cmp_lt_u32_e64 s0, 63, v0
	v_cmp_lt_u32_e64 s1, 0x7f, v0
	;; [unrolled: 1-line block ×3, first 2 shown]
	v_xor_b32_e32 v2, 31, v2
	v_dual_mov_b32 v3, 0 :: v_dual_bitop2_b32 v4, 60, v3 bitop3:0x40
	v_cmp_lt_u32_e64 s3, 0xff, v0
	v_cmp_lt_u32_e64 s4, 0x13f, v0
	s_delay_alu instid0(VALU_DEP_4) | instskip(NEXT) | instid1(VALU_DEP_4)
	v_lshrrev_b32_e64 v2, v2, -1
	v_dual_add_nc_u32 v4, 0, v4 :: v_dual_mov_b32 v6, 0
	v_cmp_lt_u32_e64 s5, 0x17f, v0
	v_cmp_lt_u32_e64 s6, 0x1bf, v0
	v_cmp_lt_u32_e64 s7, 0x1ff, v0
	v_cmp_lt_u32_e64 s8, 0x23f, v0
	v_cmp_lt_u32_e64 s9, 0x27f, v0
	v_cmp_lt_u32_e64 s10, 0x2bf, v0
	v_cmp_lt_u32_e64 s11, 0x2ff, v0
	v_cmp_lt_u32_e64 s12, 0x33f, v0
	v_cmp_lt_u32_e64 s13, 0x37f, v0
	v_cmp_lt_u32_e64 s14, 0x3bf, v0
	v_or_b32_e32 v5, 0xfffffc00, v0
	s_mov_b32 s19, 0
	v_cmp_eq_u32_e32 vcc_lo, 0x3ff, v0
	s_barrier_signal -1
	s_barrier_wait -1
	s_branch .LBB13_31
.LBB13_30:                              ;   in Loop: Header=BB13_31 Depth=1
	s_or_b32 exec_lo, exec_lo, s15
	s_wait_dscnt 0x0
	s_barrier_signal -1
	s_barrier_wait -1
	ds_load_b32 v7, v3 offset:8252
	v_add_co_u32 v5, s15, 0x400, v5
	s_xor_b32 s15, s15, -1
	v_add_nc_u32_e32 v1, 0x1000, v1
	s_and_b32 s15, exec_lo, s15
	s_delay_alu instid0(SALU_CYCLE_1)
	s_or_b32 s19, s15, s19
	s_wait_dscnt 0x0
	v_add_nc_u32_e32 v6, v7, v6
	s_and_not1_b32 exec_lo, exec_lo, s19
	s_cbranch_execz .LBB13_65
.LBB13_31:                              ; =>This Inner Loop Header: Depth=1
	ds_load_b32 v7, v1
	s_wait_dscnt 0x0
	s_barrier_signal -1
	s_barrier_wait -1
	v_cmp_gt_i32_e64 s15, s24, v7
	s_bcnt1_i32_b32 s21, s15
	s_delay_alu instid0(SALU_CYCLE_1) | instskip(NEXT) | instid1(VALU_DEP_1)
	v_dual_mov_b32 v9, s21 :: v_dual_bitop2_b32 v8, s15, v2 bitop3:0x40
	v_bcnt_u32_b32 v8, v8, 0
	ds_store_b32 v4, v9 offset:8192
	s_wait_dscnt 0x0
	s_barrier_signal -1
	s_barrier_wait -1
	s_and_saveexec_b32 s21, s0
	s_cbranch_execnz .LBB13_48
; %bb.32:                               ;   in Loop: Header=BB13_31 Depth=1
	s_or_b32 exec_lo, exec_lo, s21
	s_and_saveexec_b32 s21, s1
	s_cbranch_execnz .LBB13_49
.LBB13_33:                              ;   in Loop: Header=BB13_31 Depth=1
	s_or_b32 exec_lo, exec_lo, s21
	s_and_saveexec_b32 s21, s2
	s_cbranch_execnz .LBB13_50
.LBB13_34:                              ;   in Loop: Header=BB13_31 Depth=1
	s_or_b32 exec_lo, exec_lo, s21
	s_and_saveexec_b32 s21, s3
	s_cbranch_execnz .LBB13_51
.LBB13_35:                              ;   in Loop: Header=BB13_31 Depth=1
	s_or_b32 exec_lo, exec_lo, s21
	s_and_saveexec_b32 s21, s4
	s_cbranch_execnz .LBB13_52
.LBB13_36:                              ;   in Loop: Header=BB13_31 Depth=1
	s_or_b32 exec_lo, exec_lo, s21
	s_and_saveexec_b32 s21, s5
	s_cbranch_execnz .LBB13_53
.LBB13_37:                              ;   in Loop: Header=BB13_31 Depth=1
	s_or_b32 exec_lo, exec_lo, s21
	s_and_saveexec_b32 s21, s6
	s_cbranch_execnz .LBB13_54
.LBB13_38:                              ;   in Loop: Header=BB13_31 Depth=1
	s_or_b32 exec_lo, exec_lo, s21
	s_and_saveexec_b32 s21, s7
	s_cbranch_execnz .LBB13_55
.LBB13_39:                              ;   in Loop: Header=BB13_31 Depth=1
	s_or_b32 exec_lo, exec_lo, s21
	s_and_saveexec_b32 s21, s8
	s_cbranch_execnz .LBB13_56
.LBB13_40:                              ;   in Loop: Header=BB13_31 Depth=1
	s_or_b32 exec_lo, exec_lo, s21
	s_and_saveexec_b32 s21, s9
	s_cbranch_execnz .LBB13_57
.LBB13_41:                              ;   in Loop: Header=BB13_31 Depth=1
	s_or_b32 exec_lo, exec_lo, s21
	s_and_saveexec_b32 s21, s10
	s_cbranch_execnz .LBB13_58
.LBB13_42:                              ;   in Loop: Header=BB13_31 Depth=1
	s_or_b32 exec_lo, exec_lo, s21
	s_and_saveexec_b32 s21, s11
	s_cbranch_execnz .LBB13_59
.LBB13_43:                              ;   in Loop: Header=BB13_31 Depth=1
	s_or_b32 exec_lo, exec_lo, s21
	s_and_saveexec_b32 s21, s12
	s_cbranch_execnz .LBB13_60
.LBB13_44:                              ;   in Loop: Header=BB13_31 Depth=1
	s_or_b32 exec_lo, exec_lo, s21
	s_and_saveexec_b32 s21, s13
	s_cbranch_execnz .LBB13_61
.LBB13_45:                              ;   in Loop: Header=BB13_31 Depth=1
	s_or_b32 exec_lo, exec_lo, s21
	s_and_saveexec_b32 s21, s14
	s_cbranch_execnz .LBB13_62
.LBB13_46:                              ;   in Loop: Header=BB13_31 Depth=1
	s_or_b32 exec_lo, exec_lo, s21
	s_and_saveexec_b32 s21, s15
	s_cbranch_execnz .LBB13_63
.LBB13_47:                              ;   in Loop: Header=BB13_31 Depth=1
	s_or_b32 exec_lo, exec_lo, s21
	s_and_saveexec_b32 s15, vcc_lo
	s_cbranch_execz .LBB13_30
	s_branch .LBB13_64
.LBB13_48:                              ;   in Loop: Header=BB13_31 Depth=1
	ds_load_b32 v9, v3 offset:8192
	s_wait_dscnt 0x0
	v_add_nc_u32_e32 v8, v9, v8
	s_or_b32 exec_lo, exec_lo, s21
	s_and_saveexec_b32 s21, s1
	s_cbranch_execz .LBB13_33
.LBB13_49:                              ;   in Loop: Header=BB13_31 Depth=1
	ds_load_b32 v9, v3 offset:8196
	s_wait_dscnt 0x0
	v_add_nc_u32_e32 v8, v9, v8
	s_or_b32 exec_lo, exec_lo, s21
	s_and_saveexec_b32 s21, s2
	s_cbranch_execz .LBB13_34
.LBB13_50:                              ;   in Loop: Header=BB13_31 Depth=1
	ds_load_b32 v9, v3 offset:8200
	s_wait_dscnt 0x0
	v_add_nc_u32_e32 v8, v9, v8
	s_or_b32 exec_lo, exec_lo, s21
	s_and_saveexec_b32 s21, s3
	s_cbranch_execz .LBB13_35
.LBB13_51:                              ;   in Loop: Header=BB13_31 Depth=1
	ds_load_b32 v9, v3 offset:8204
	s_wait_dscnt 0x0
	v_add_nc_u32_e32 v8, v9, v8
	s_or_b32 exec_lo, exec_lo, s21
	s_and_saveexec_b32 s21, s4
	s_cbranch_execz .LBB13_36
.LBB13_52:                              ;   in Loop: Header=BB13_31 Depth=1
	ds_load_b32 v9, v3 offset:8208
	s_wait_dscnt 0x0
	v_add_nc_u32_e32 v8, v9, v8
	s_or_b32 exec_lo, exec_lo, s21
	s_and_saveexec_b32 s21, s5
	s_cbranch_execz .LBB13_37
.LBB13_53:                              ;   in Loop: Header=BB13_31 Depth=1
	ds_load_b32 v9, v3 offset:8212
	s_wait_dscnt 0x0
	v_add_nc_u32_e32 v8, v9, v8
	s_or_b32 exec_lo, exec_lo, s21
	s_and_saveexec_b32 s21, s6
	s_cbranch_execz .LBB13_38
.LBB13_54:                              ;   in Loop: Header=BB13_31 Depth=1
	ds_load_b32 v9, v3 offset:8216
	s_wait_dscnt 0x0
	v_add_nc_u32_e32 v8, v9, v8
	s_or_b32 exec_lo, exec_lo, s21
	s_and_saveexec_b32 s21, s7
	s_cbranch_execz .LBB13_39
.LBB13_55:                              ;   in Loop: Header=BB13_31 Depth=1
	ds_load_b32 v9, v3 offset:8220
	s_wait_dscnt 0x0
	v_add_nc_u32_e32 v8, v9, v8
	s_or_b32 exec_lo, exec_lo, s21
	s_and_saveexec_b32 s21, s8
	s_cbranch_execz .LBB13_40
.LBB13_56:                              ;   in Loop: Header=BB13_31 Depth=1
	ds_load_b32 v9, v3 offset:8224
	s_wait_dscnt 0x0
	v_add_nc_u32_e32 v8, v9, v8
	s_or_b32 exec_lo, exec_lo, s21
	s_and_saveexec_b32 s21, s9
	s_cbranch_execz .LBB13_41
.LBB13_57:                              ;   in Loop: Header=BB13_31 Depth=1
	ds_load_b32 v9, v3 offset:8228
	s_wait_dscnt 0x0
	v_add_nc_u32_e32 v8, v9, v8
	s_or_b32 exec_lo, exec_lo, s21
	s_and_saveexec_b32 s21, s10
	s_cbranch_execz .LBB13_42
.LBB13_58:                              ;   in Loop: Header=BB13_31 Depth=1
	ds_load_b32 v9, v3 offset:8232
	s_wait_dscnt 0x0
	v_add_nc_u32_e32 v8, v9, v8
	s_or_b32 exec_lo, exec_lo, s21
	s_and_saveexec_b32 s21, s11
	s_cbranch_execz .LBB13_43
.LBB13_59:                              ;   in Loop: Header=BB13_31 Depth=1
	ds_load_b32 v9, v3 offset:8236
	s_wait_dscnt 0x0
	v_add_nc_u32_e32 v8, v9, v8
	s_or_b32 exec_lo, exec_lo, s21
	s_and_saveexec_b32 s21, s12
	s_cbranch_execz .LBB13_44
.LBB13_60:                              ;   in Loop: Header=BB13_31 Depth=1
	ds_load_b32 v9, v3 offset:8240
	s_wait_dscnt 0x0
	v_add_nc_u32_e32 v8, v9, v8
	s_or_b32 exec_lo, exec_lo, s21
	s_and_saveexec_b32 s21, s13
	s_cbranch_execz .LBB13_45
.LBB13_61:                              ;   in Loop: Header=BB13_31 Depth=1
	ds_load_b32 v9, v3 offset:8244
	s_wait_dscnt 0x0
	v_add_nc_u32_e32 v8, v9, v8
	s_or_b32 exec_lo, exec_lo, s21
	s_and_saveexec_b32 s21, s14
	s_cbranch_execz .LBB13_46
.LBB13_62:                              ;   in Loop: Header=BB13_31 Depth=1
	ds_load_b32 v9, v3 offset:8248
	s_wait_dscnt 0x0
	v_add_nc_u32_e32 v8, v9, v8
	s_or_b32 exec_lo, exec_lo, s21
	s_and_saveexec_b32 s21, s15
	s_cbranch_execz .LBB13_47
.LBB13_63:                              ;   in Loop: Header=BB13_31 Depth=1
	s_delay_alu instid0(VALU_DEP_1) | instskip(NEXT) | instid1(VALU_DEP_1)
	v_dual_lshlrev_b32 v9, 2, v6 :: v_dual_lshlrev_b32 v10, 2, v8
	v_add_nc_u32_e32 v9, 0, v9
	s_delay_alu instid0(VALU_DEP_1)
	v_add3_u32 v9, v9, v10, -4
	ds_store_b32 v9, v7
	s_or_b32 exec_lo, exec_lo, s21
	s_and_saveexec_b32 s15, vcc_lo
	s_cbranch_execz .LBB13_30
.LBB13_64:                              ;   in Loop: Header=BB13_31 Depth=1
	ds_store_b32 v3, v8 offset:8252
	s_branch .LBB13_30
.LBB13_65:
	s_or_b32 exec_lo, exec_lo, s19
	s_ashr_i32 s21, s20, 31
	s_delay_alu instid0(SALU_CYCLE_1)
	s_lshl_b64 s[0:1], s[20:21], 2
	s_wait_kmcnt 0x0
	s_add_nc_u64 s[2:3], s[22:23], s[0:1]
	s_load_b64 s[0:1], s[2:3], 0x0
	s_wait_kmcnt 0x0
	s_sub_co_i32 s4, s1, s0
	s_mov_b32 s1, exec_lo
	v_cmpx_gt_i32_e64 s4, v0
	s_cbranch_execz .LBB13_79
; %bb.66:
	v_sub_co_u32 v1, s1, s4, 2
	s_sub_co_i32 s2, s0, s18
	s_xor_b32 s6, s1, -1
	s_and_b32 s5, s4, -2
	v_readfirstlane_b32 s3, v1
	s_lshr_b32 s0, s3, 1
	s_mov_b32 s3, 0
	s_add_co_i32 s0, s0, 1
	s_mov_b32 s11, s3
	s_and_b32 s1, s0, 7
	s_and_b32 s7, s0, -8
	s_cmp_lg_u32 s1, 0
	v_cmp_lt_u32_e64 s0, 13, v1
	s_cselect_b32 s8, -1, 0
	s_cmp_lg_u32 s4, s5
	s_cselect_b32 s9, -1, 0
	s_lshl_b32 s10, s1, 3
	s_branch .LBB13_68
.LBB13_67:                              ;   in Loop: Header=BB13_68 Depth=1
	v_add_nc_u32_e32 v0, 0x400, v0
	s_wait_dscnt 0x0
	v_add_nc_u32_e32 v1, s18, v1
	s_delay_alu instid0(VALU_DEP_2)
	v_cmp_le_i32_e32 vcc_lo, s4, v0
	global_store_b32 v2, v1, s[16:17] scale_offset
	s_or_b32 s11, vcc_lo, s11
	s_wait_xcnt 0x0
	s_and_not1_b32 exec_lo, exec_lo, s11
	s_cbranch_execz .LBB13_79
.LBB13_68:                              ; =>This Loop Header: Depth=1
                                        ;     Child Loop BB13_71 Depth 2
                                        ;     Child Loop BB13_74 Depth 2
	;; [unrolled: 1-line block ×3, first 2 shown]
	v_lshl_add_u32 v1, v0, 2, 0
	v_mov_b32_e32 v2, s2
	s_and_not1_b32 vcc_lo, exec_lo, s6
	s_mov_b32 s1, 0
	s_mov_b32 s12, -1
	ds_load_b32 v1, v1
	s_cbranch_vccnz .LBB13_76
; %bb.69:                               ;   in Loop: Header=BB13_68 Depth=1
	v_mov_b64_e32 v[2:3], s[2:3]
	s_and_not1_b32 vcc_lo, exec_lo, s0
	s_mov_b32 s12, 0
	s_cbranch_vccnz .LBB13_72
; %bb.70:                               ;   in Loop: Header=BB13_68 Depth=1
	v_dual_mov_b32 v2, s2 :: v_dual_mov_b32 v3, 0
	s_mov_b32 s13, 0
	s_mov_b32 s14, s7
.LBB13_71:                              ;   Parent Loop BB13_68 Depth=1
                                        ; =>  This Inner Loop Header: Depth=2
	v_mov_b32_e32 v18, s13
	s_add_co_i32 s14, s14, -8
	s_add_co_i32 s12, s12, 16
	s_add_co_i32 s13, s13, 64
	s_cmp_lg_u32 s14, 0
	ds_load_2addr_b32 v[4:5], v18 offset1:1
	ds_load_2addr_b32 v[6:7], v18 offset0:2 offset1:3
	ds_load_2addr_b32 v[8:9], v18 offset0:4 offset1:5
	;; [unrolled: 1-line block ×7, first 2 shown]
	s_wait_dscnt 0x7
	v_cmp_gt_i32_e32 vcc_lo, v1, v5
	s_wait_dscnt 0x5
	v_cmp_gt_i32_e64 s1, v1, v8
	v_cndmask_b32_e64 v5, 0, 1, vcc_lo
	v_cmp_gt_i32_e32 vcc_lo, v1, v4
	v_cndmask_b32_e64 v4, 0, 1, vcc_lo
	v_cmp_gt_i32_e32 vcc_lo, v1, v6
	v_cndmask_b32_e64 v6, 0, 1, s1
	v_cmp_gt_i32_e64 s1, v1, v9
	s_delay_alu instid0(VALU_DEP_4) | instskip(NEXT) | instid1(VALU_DEP_2)
	v_add_co_ci_u32_e64 v2, null, v2, v4, vcc_lo
	v_cndmask_b32_e64 v8, 0, 1, s1
	s_wait_dscnt 0x4
	v_cmp_gt_i32_e64 s1, v1, v11
	s_wait_dscnt 0x2
	v_cmp_gt_i32_e32 vcc_lo, v1, v14
	s_delay_alu instid0(VALU_DEP_2) | instskip(SKIP_4) | instid1(VALU_DEP_3)
	v_cndmask_b32_e64 v9, 0, 1, s1
	v_cmp_gt_i32_e64 s1, v1, v10
	v_add_co_ci_u32_e64 v2, null, v2, v6, vcc_lo
	s_wait_dscnt 0x1
	v_cmp_gt_i32_e32 vcc_lo, v1, v16
	v_cndmask_b32_e64 v10, 0, 1, s1
	v_cmp_gt_i32_e64 s1, v1, v12
	s_delay_alu instid0(VALU_DEP_2) | instskip(NEXT) | instid1(VALU_DEP_2)
	v_add_co_ci_u32_e64 v2, null, v2, v10, vcc_lo
	v_cndmask_b32_e64 v11, 0, 1, s1
	v_cmp_gt_i32_e64 s1, v1, v13
	s_wait_dscnt 0x0
	v_cmp_gt_i32_e32 vcc_lo, v1, v18
	s_delay_alu instid0(VALU_DEP_2) | instskip(SKIP_2) | instid1(VALU_DEP_2)
	v_cndmask_b32_e64 v12, 0, 1, s1
	v_cmp_gt_i32_e64 s1, v1, v7
	v_add_co_ci_u32_e64 v2, null, v2, v11, vcc_lo
	v_add_co_ci_u32_e64 v3, null, v3, v5, s1
	v_cmp_gt_i32_e64 s1, v1, v15
	s_delay_alu instid0(VALU_DEP_1) | instskip(SKIP_1) | instid1(VALU_DEP_1)
	v_add_co_ci_u32_e64 v3, null, v3, v8, s1
	v_cmp_gt_i32_e64 s1, v1, v17
	v_add_co_ci_u32_e64 v3, null, v3, v9, s1
	v_cmp_gt_i32_e64 s1, v1, v19
	s_delay_alu instid0(VALU_DEP_1)
	v_add_co_ci_u32_e64 v3, null, v3, v12, s1
	s_cbranch_scc1 .LBB13_71
.LBB13_72:                              ;   in Loop: Header=BB13_68 Depth=1
	s_and_not1_b32 vcc_lo, exec_lo, s8
	s_cbranch_vccnz .LBB13_75
; %bb.73:                               ;   in Loop: Header=BB13_68 Depth=1
	s_lshl_b32 s1, s12, 2
	s_mov_b32 s12, s10
	s_add_co_i32 s1, s1, 0
.LBB13_74:                              ;   Parent Loop BB13_68 Depth=1
                                        ; =>  This Inner Loop Header: Depth=2
	s_delay_alu instid0(SALU_CYCLE_1)
	v_mov_b32_e32 v4, s1
	s_add_co_i32 s12, s12, -8
	s_add_co_i32 s1, s1, 8
	s_cmp_lg_u32 s12, 0
	ds_load_2addr_b32 v[4:5], v4 offset1:1
	s_wait_dscnt 0x0
	v_cmp_gt_i32_e32 vcc_lo, v1, v5
	v_add_co_ci_u32_e64 v3, null, 0, v3, vcc_lo
	v_cmp_gt_i32_e32 vcc_lo, v1, v4
	v_add_co_ci_u32_e64 v2, null, 0, v2, vcc_lo
	s_cbranch_scc1 .LBB13_74
.LBB13_75:                              ;   in Loop: Header=BB13_68 Depth=1
	s_delay_alu instid0(VALU_DEP_1)
	v_add_nc_u32_e32 v2, v2, v3
	s_mov_b32 s1, s5
	s_mov_b32 s12, s9
.LBB13_76:                              ;   in Loop: Header=BB13_68 Depth=1
	s_delay_alu instid0(SALU_CYCLE_1)
	s_and_b32 vcc_lo, exec_lo, s12
	s_cbranch_vccz .LBB13_67
; %bb.77:                               ;   in Loop: Header=BB13_68 Depth=1
	s_lshl_b32 s12, s1, 2
	s_delay_alu instid0(SALU_CYCLE_1)
	s_add_co_i32 s12, s12, 0
.LBB13_78:                              ;   Parent Loop BB13_68 Depth=1
                                        ; =>  This Inner Loop Header: Depth=2
	s_delay_alu instid0(SALU_CYCLE_1)
	v_mov_b32_e32 v3, s12
	s_add_co_i32 s1, s1, 1
	s_add_co_i32 s12, s12, 4
	s_cmp_ge_i32 s1, s4
	ds_load_b32 v3, v3
	s_wait_dscnt 0x0
	v_cmp_gt_i32_e32 vcc_lo, v1, v3
	v_add_co_ci_u32_e64 v2, null, 0, v2, vcc_lo
	s_cbranch_scc0 .LBB13_78
	s_branch .LBB13_67
.LBB13_79:
	s_endpgm
	.section	.rodata,"a",@progbits
	.p2align	6, 0x0
	.amdhsa_kernel _ZN9rocsparseL35csrgemm_symbolic_fill_block_per_rowILj1024ELj32ELj2048ELj137ELj64EiiEEvT5_PKS1_S3_PKT4_S3_S6_S3_S6_S3_S6_PS1_21rocsparse_index_base_S8_S8_S8_bb
		.amdhsa_group_segment_fixed_size 0
		.amdhsa_private_segment_fixed_size 0
		.amdhsa_kernarg_size 108
		.amdhsa_user_sgpr_count 2
		.amdhsa_user_sgpr_dispatch_ptr 0
		.amdhsa_user_sgpr_queue_ptr 0
		.amdhsa_user_sgpr_kernarg_segment_ptr 1
		.amdhsa_user_sgpr_dispatch_id 0
		.amdhsa_user_sgpr_kernarg_preload_length 0
		.amdhsa_user_sgpr_kernarg_preload_offset 0
		.amdhsa_user_sgpr_private_segment_size 0
		.amdhsa_wavefront_size32 1
		.amdhsa_uses_dynamic_stack 0
		.amdhsa_enable_private_segment 0
		.amdhsa_system_sgpr_workgroup_id_x 1
		.amdhsa_system_sgpr_workgroup_id_y 0
		.amdhsa_system_sgpr_workgroup_id_z 0
		.amdhsa_system_sgpr_workgroup_info 0
		.amdhsa_system_vgpr_workitem_id 0
		.amdhsa_next_free_vgpr 20
		.amdhsa_next_free_sgpr 25
		.amdhsa_named_barrier_count 0
		.amdhsa_reserve_vcc 1
		.amdhsa_float_round_mode_32 0
		.amdhsa_float_round_mode_16_64 0
		.amdhsa_float_denorm_mode_32 3
		.amdhsa_float_denorm_mode_16_64 3
		.amdhsa_fp16_overflow 0
		.amdhsa_memory_ordered 1
		.amdhsa_forward_progress 1
		.amdhsa_inst_pref_size 23
		.amdhsa_round_robin_scheduling 0
		.amdhsa_exception_fp_ieee_invalid_op 0
		.amdhsa_exception_fp_denorm_src 0
		.amdhsa_exception_fp_ieee_div_zero 0
		.amdhsa_exception_fp_ieee_overflow 0
		.amdhsa_exception_fp_ieee_underflow 0
		.amdhsa_exception_fp_ieee_inexact 0
		.amdhsa_exception_int_div_zero 0
	.end_amdhsa_kernel
	.section	.text._ZN9rocsparseL35csrgemm_symbolic_fill_block_per_rowILj1024ELj32ELj2048ELj137ELj64EiiEEvT5_PKS1_S3_PKT4_S3_S6_S3_S6_S3_S6_PS1_21rocsparse_index_base_S8_S8_S8_bb,"axG",@progbits,_ZN9rocsparseL35csrgemm_symbolic_fill_block_per_rowILj1024ELj32ELj2048ELj137ELj64EiiEEvT5_PKS1_S3_PKT4_S3_S6_S3_S6_S3_S6_PS1_21rocsparse_index_base_S8_S8_S8_bb,comdat
.Lfunc_end13:
	.size	_ZN9rocsparseL35csrgemm_symbolic_fill_block_per_rowILj1024ELj32ELj2048ELj137ELj64EiiEEvT5_PKS1_S3_PKT4_S3_S6_S3_S6_S3_S6_PS1_21rocsparse_index_base_S8_S8_S8_bb, .Lfunc_end13-_ZN9rocsparseL35csrgemm_symbolic_fill_block_per_rowILj1024ELj32ELj2048ELj137ELj64EiiEEvT5_PKS1_S3_PKT4_S3_S6_S3_S6_S3_S6_PS1_21rocsparse_index_base_S8_S8_S8_bb
                                        ; -- End function
	.set _ZN9rocsparseL35csrgemm_symbolic_fill_block_per_rowILj1024ELj32ELj2048ELj137ELj64EiiEEvT5_PKS1_S3_PKT4_S3_S6_S3_S6_S3_S6_PS1_21rocsparse_index_base_S8_S8_S8_bb.num_vgpr, 20
	.set _ZN9rocsparseL35csrgemm_symbolic_fill_block_per_rowILj1024ELj32ELj2048ELj137ELj64EiiEEvT5_PKS1_S3_PKT4_S3_S6_S3_S6_S3_S6_PS1_21rocsparse_index_base_S8_S8_S8_bb.num_agpr, 0
	.set _ZN9rocsparseL35csrgemm_symbolic_fill_block_per_rowILj1024ELj32ELj2048ELj137ELj64EiiEEvT5_PKS1_S3_PKT4_S3_S6_S3_S6_S3_S6_PS1_21rocsparse_index_base_S8_S8_S8_bb.numbered_sgpr, 25
	.set _ZN9rocsparseL35csrgemm_symbolic_fill_block_per_rowILj1024ELj32ELj2048ELj137ELj64EiiEEvT5_PKS1_S3_PKT4_S3_S6_S3_S6_S3_S6_PS1_21rocsparse_index_base_S8_S8_S8_bb.num_named_barrier, 0
	.set _ZN9rocsparseL35csrgemm_symbolic_fill_block_per_rowILj1024ELj32ELj2048ELj137ELj64EiiEEvT5_PKS1_S3_PKT4_S3_S6_S3_S6_S3_S6_PS1_21rocsparse_index_base_S8_S8_S8_bb.private_seg_size, 0
	.set _ZN9rocsparseL35csrgemm_symbolic_fill_block_per_rowILj1024ELj32ELj2048ELj137ELj64EiiEEvT5_PKS1_S3_PKT4_S3_S6_S3_S6_S3_S6_PS1_21rocsparse_index_base_S8_S8_S8_bb.uses_vcc, 1
	.set _ZN9rocsparseL35csrgemm_symbolic_fill_block_per_rowILj1024ELj32ELj2048ELj137ELj64EiiEEvT5_PKS1_S3_PKT4_S3_S6_S3_S6_S3_S6_PS1_21rocsparse_index_base_S8_S8_S8_bb.uses_flat_scratch, 0
	.set _ZN9rocsparseL35csrgemm_symbolic_fill_block_per_rowILj1024ELj32ELj2048ELj137ELj64EiiEEvT5_PKS1_S3_PKT4_S3_S6_S3_S6_S3_S6_PS1_21rocsparse_index_base_S8_S8_S8_bb.has_dyn_sized_stack, 0
	.set _ZN9rocsparseL35csrgemm_symbolic_fill_block_per_rowILj1024ELj32ELj2048ELj137ELj64EiiEEvT5_PKS1_S3_PKT4_S3_S6_S3_S6_S3_S6_PS1_21rocsparse_index_base_S8_S8_S8_bb.has_recursion, 0
	.set _ZN9rocsparseL35csrgemm_symbolic_fill_block_per_rowILj1024ELj32ELj2048ELj137ELj64EiiEEvT5_PKS1_S3_PKT4_S3_S6_S3_S6_S3_S6_PS1_21rocsparse_index_base_S8_S8_S8_bb.has_indirect_call, 0
	.section	.AMDGPU.csdata,"",@progbits
; Kernel info:
; codeLenInByte = 2940
; TotalNumSgprs: 27
; NumVgprs: 20
; ScratchSize: 0
; MemoryBound: 0
; FloatMode: 240
; IeeeMode: 1
; LDSByteSize: 0 bytes/workgroup (compile time only)
; SGPRBlocks: 0
; VGPRBlocks: 1
; NumSGPRsForWavesPerEU: 27
; NumVGPRsForWavesPerEU: 20
; NamedBarCnt: 0
; Occupancy: 16
; WaveLimiterHint : 1
; COMPUTE_PGM_RSRC2:SCRATCH_EN: 0
; COMPUTE_PGM_RSRC2:USER_SGPR: 2
; COMPUTE_PGM_RSRC2:TRAP_HANDLER: 0
; COMPUTE_PGM_RSRC2:TGID_X_EN: 1
; COMPUTE_PGM_RSRC2:TGID_Y_EN: 0
; COMPUTE_PGM_RSRC2:TGID_Z_EN: 0
; COMPUTE_PGM_RSRC2:TIDIG_COMP_CNT: 0
	.section	.text._ZN9rocsparseL35csrgemm_symbolic_fill_block_per_rowILj1024ELj64ELj4096ELj137ELj32EiiEEvT5_PKS1_S3_PKT4_S3_S6_S3_S6_S3_S6_PS1_21rocsparse_index_base_S8_S8_S8_bb,"axG",@progbits,_ZN9rocsparseL35csrgemm_symbolic_fill_block_per_rowILj1024ELj64ELj4096ELj137ELj32EiiEEvT5_PKS1_S3_PKT4_S3_S6_S3_S6_S3_S6_PS1_21rocsparse_index_base_S8_S8_S8_bb,comdat
	.globl	_ZN9rocsparseL35csrgemm_symbolic_fill_block_per_rowILj1024ELj64ELj4096ELj137ELj32EiiEEvT5_PKS1_S3_PKT4_S3_S6_S3_S6_S3_S6_PS1_21rocsparse_index_base_S8_S8_S8_bb ; -- Begin function _ZN9rocsparseL35csrgemm_symbolic_fill_block_per_rowILj1024ELj64ELj4096ELj137ELj32EiiEEvT5_PKS1_S3_PKT4_S3_S6_S3_S6_S3_S6_PS1_21rocsparse_index_base_S8_S8_S8_bb
	.p2align	8
	.type	_ZN9rocsparseL35csrgemm_symbolic_fill_block_per_rowILj1024ELj64ELj4096ELj137ELj32EiiEEvT5_PKS1_S3_PKT4_S3_S6_S3_S6_S3_S6_PS1_21rocsparse_index_base_S8_S8_S8_bb,@function
_ZN9rocsparseL35csrgemm_symbolic_fill_block_per_rowILj1024ELj64ELj4096ELj137ELj32EiiEEvT5_PKS1_S3_PKT4_S3_S6_S3_S6_S3_S6_PS1_21rocsparse_index_base_S8_S8_S8_bb: ; @_ZN9rocsparseL35csrgemm_symbolic_fill_block_per_rowILj1024ELj64ELj4096ELj137ELj32EiiEEvT5_PKS1_S3_PKT4_S3_S6_S3_S6_S3_S6_PS1_21rocsparse_index_base_S8_S8_S8_bb
; %bb.0:
	s_clause 0x1
	s_load_b32 s33, s[0:1], 0x0
	s_load_b128 s[4:7], s[0:1], 0x8
	v_lshl_add_u32 v1, v0, 2, 0
	s_bfe_u32 s3, ttmp6, 0x4000c
	s_load_b32 s8, s[0:1], 0x68
	s_add_co_i32 s3, s3, 1
	s_delay_alu instid0(SALU_CYCLE_1)
	s_mul_i32 s3, ttmp9, s3
	s_wait_kmcnt 0x0
	v_dual_mov_b32 v2, s33 :: v_dual_mov_b32 v3, s33
	v_dual_mov_b32 v4, s33 :: v_dual_mov_b32 v5, s33
	ds_store_2addr_stride64_b32 v1, v2, v3 offset1:16
	ds_store_2addr_stride64_b32 v1, v4, v5 offset0:32 offset1:48
	s_wait_dscnt 0x0
	s_barrier_signal -1
	s_barrier_wait -1
	s_load_b32 s2, s[4:5], 0x0
	s_wait_xcnt 0x0
	s_and_b32 s4, ttmp6, 15
	s_getreg_b32 s5, hwreg(HW_REG_IB_STS2, 6, 4)
	s_add_co_i32 s4, s4, s3
	s_cmp_eq_u32 s5, 0
	s_cselect_b32 s3, ttmp9, s4
	s_wait_kmcnt 0x0
	s_add_co_i32 s2, s2, s3
	s_load_b128 s[36:39], s[0:1], 0x58
	s_load_b32 s40, s[6:7], s2 offset:0x0 scale_offset
	s_bitcmp0_b32 s8, 0
	s_cbranch_scc1 .LBB14_16
; %bb.1:
	s_wait_xcnt 0x0
	s_load_b64 s[2:3], s[0:1], 0x18
	s_wait_kmcnt 0x0
	s_ashr_i32 s41, s40, 31
	v_lshrrev_b32_e32 v2, 6, v0
	s_lshl_b64 s[4:5], s[40:41], 2
	s_mov_b32 s10, exec_lo
	s_delay_alu instid0(VALU_DEP_1) | instskip(SKIP_3) | instid1(VALU_DEP_1)
	v_subrev_nc_u32_e32 v2, s36, v2
	s_add_nc_u64 s[2:3], s[2:3], s[4:5]
	s_load_b64 s[4:5], s[2:3], 0x0
	s_wait_kmcnt 0x0
	v_add_nc_u32_e32 v2, s4, v2
	s_sub_co_i32 s9, s5, s36
	s_delay_alu instid0(VALU_DEP_1) | instid1(SALU_CYCLE_1)
	v_cmpx_gt_i32_e64 s9, v2
	s_cbranch_execz .LBB14_15
; %bb.2:
	s_clause 0x1
	s_load_b128 s[4:7], s[0:1], 0x20
	s_load_b64 s[2:3], s[0:1], 0x30
	v_and_b32_e32 v3, 63, v0
	s_mov_b32 s11, 0
	s_delay_alu instid0(VALU_DEP_1)
	v_subrev_nc_u32_e32 v3, s37, v3
	s_branch .LBB14_4
.LBB14_3:                               ;   in Loop: Header=BB14_4 Depth=1
	s_or_b32 exec_lo, exec_lo, s12
	v_add_nc_u32_e32 v2, 16, v2
	s_delay_alu instid0(VALU_DEP_1) | instskip(SKIP_1) | instid1(SALU_CYCLE_1)
	v_cmp_le_i32_e32 vcc_lo, s9, v2
	s_or_b32 s11, vcc_lo, s11
	s_and_not1_b32 exec_lo, exec_lo, s11
	s_cbranch_execz .LBB14_15
.LBB14_4:                               ; =>This Loop Header: Depth=1
                                        ;     Child Loop BB14_7 Depth 2
                                        ;       Child Loop BB14_10 Depth 3
	s_wait_kmcnt 0x0
	global_load_b32 v4, v2, s[4:5] scale_offset
	s_mov_b32 s12, exec_lo
	s_wait_loadcnt 0x0
	v_subrev_nc_u32_e32 v4, s36, v4
	s_delay_alu instid0(VALU_DEP_1) | instskip(NEXT) | instid1(VALU_DEP_1)
	v_ashrrev_i32_e32 v5, 31, v4
	v_lshl_add_u64 v[4:5], v[4:5], 2, s[6:7]
	global_load_b64 v[6:7], v[4:5], off
	s_wait_loadcnt 0x0
	v_subrev_nc_u32_e32 v4, s37, v7
	v_add_nc_u32_e32 v5, v6, v3
	s_delay_alu instid0(VALU_DEP_1)
	v_cmpx_lt_i32_e64 v5, v4
	s_cbranch_execz .LBB14_3
; %bb.5:                                ;   in Loop: Header=BB14_4 Depth=1
	s_mov_b32 s13, 0
	s_branch .LBB14_7
.LBB14_6:                               ;   in Loop: Header=BB14_7 Depth=2
	s_or_b32 exec_lo, exec_lo, s14
	v_add_nc_u32_e32 v5, 64, v5
	s_delay_alu instid0(VALU_DEP_1) | instskip(SKIP_1) | instid1(SALU_CYCLE_1)
	v_cmp_ge_i32_e32 vcc_lo, v5, v4
	s_or_b32 s13, vcc_lo, s13
	s_and_not1_b32 exec_lo, exec_lo, s13
	s_cbranch_execz .LBB14_3
.LBB14_7:                               ;   Parent Loop BB14_4 Depth=1
                                        ; =>  This Loop Header: Depth=2
                                        ;       Child Loop BB14_10 Depth 3
	global_load_b32 v6, v5, s[2:3] scale_offset
	s_mov_b32 s14, 0
                                        ; implicit-def: $sgpr15
	s_wait_loadcnt 0x0
	v_subrev_nc_u32_e32 v6, s37, v6
	s_delay_alu instid0(VALU_DEP_1) | instskip(NEXT) | instid1(VALU_DEP_1)
	v_mul_lo_u32 v7, 0x89, v6
	v_and_b32_e32 v7, 0xfff, v7
	s_branch .LBB14_10
.LBB14_8:                               ;   in Loop: Header=BB14_10 Depth=3
	s_or_b32 exec_lo, exec_lo, s17
	s_delay_alu instid0(SALU_CYCLE_1) | instskip(SKIP_1) | instid1(SALU_CYCLE_1)
	s_and_not1_b32 s15, s15, exec_lo
	s_and_b32 s17, s18, exec_lo
	s_or_b32 s15, s15, s17
.LBB14_9:                               ;   in Loop: Header=BB14_10 Depth=3
	s_or_b32 exec_lo, exec_lo, s16
	s_xor_b32 s16, s15, -1
	s_delay_alu instid0(SALU_CYCLE_1) | instskip(NEXT) | instid1(SALU_CYCLE_1)
	s_and_b32 s16, exec_lo, s16
	s_or_b32 s14, s16, s14
	s_delay_alu instid0(SALU_CYCLE_1)
	s_and_not1_b32 exec_lo, exec_lo, s14
	s_cbranch_execz .LBB14_6
.LBB14_10:                              ;   Parent Loop BB14_4 Depth=1
                                        ;     Parent Loop BB14_7 Depth=2
                                        ; =>    This Inner Loop Header: Depth=3
	s_delay_alu instid0(VALU_DEP_1)
	v_lshl_add_u32 v8, v7, 2, 0
	s_and_not1_b32 s15, s15, exec_lo
	s_mov_b32 s16, exec_lo
	ds_load_b32 v9, v8
	s_wait_dscnt 0x0
	v_cmpx_ne_u32_e64 v9, v6
	s_cbranch_execz .LBB14_9
; %bb.11:                               ;   in Loop: Header=BB14_10 Depth=3
	s_mov_b32 s17, exec_lo
	v_cmpx_ne_u32_e64 s33, v9
	s_xor_b32 s17, exec_lo, s17
; %bb.12:                               ;   in Loop: Header=BB14_10 Depth=3
	v_add_nc_u32_e32 v7, 1, v7
                                        ; implicit-def: $vgpr8
	s_delay_alu instid0(VALU_DEP_1)
	v_and_b32_e32 v7, 0xfff, v7
; %bb.13:                               ;   in Loop: Header=BB14_10 Depth=3
	s_or_saveexec_b32 s17, s17
	s_mov_b32 s18, -1
	s_xor_b32 exec_lo, exec_lo, s17
	s_cbranch_execz .LBB14_8
; %bb.14:                               ;   in Loop: Header=BB14_10 Depth=3
	v_mov_b32_e32 v9, s33
	ds_cmpstore_rtn_b32 v8, v8, v6, v9
	s_wait_dscnt 0x0
	v_cmp_ne_u32_e32 vcc_lo, s33, v8
	s_or_not1_b32 s18, vcc_lo, exec_lo
	s_branch .LBB14_8
.LBB14_15:
	s_or_b32 exec_lo, exec_lo, s10
.LBB14_16:
	s_load_b64 s[34:35], s[0:1], 0x50
	s_wait_xcnt 0x0
	s_bfe_u32 s2, s8, 0x10008
	s_delay_alu instid0(SALU_CYCLE_1)
	s_cmp_eq_u32 s2, 0
	s_cbranch_scc1 .LBB14_29
; %bb.17:
	s_load_b64 s[2:3], s[0:1], 0x38
	s_wait_kmcnt 0x0
	s_ashr_i32 s41, s40, 31
	v_subrev_nc_u32_e32 v2, s39, v0
	s_lshl_b64 s[4:5], s[40:41], 2
	s_delay_alu instid0(SALU_CYCLE_1)
	s_add_nc_u64 s[2:3], s[2:3], s[4:5]
	s_load_b64 s[4:5], s[2:3], 0x0
	s_wait_kmcnt 0x0
	v_add_nc_u32_e32 v2, s4, v2
	s_sub_co_i32 s4, s5, s39
	s_mov_b32 s5, exec_lo
	s_delay_alu instid0(VALU_DEP_1)
	v_cmpx_gt_i32_e64 s4, v2
	s_cbranch_execz .LBB14_28
; %bb.18:
	s_load_b64 s[2:3], s[0:1], 0x40
	s_mov_b32 s6, 0
	s_branch .LBB14_20
.LBB14_19:                              ;   in Loop: Header=BB14_20 Depth=1
	s_or_b32 exec_lo, exec_lo, s7
	v_add_nc_u32_e32 v2, 0x400, v2
	s_delay_alu instid0(VALU_DEP_1) | instskip(SKIP_1) | instid1(SALU_CYCLE_1)
	v_cmp_le_i32_e32 vcc_lo, s4, v2
	s_or_b32 s6, vcc_lo, s6
	s_and_not1_b32 exec_lo, exec_lo, s6
	s_cbranch_execz .LBB14_28
.LBB14_20:                              ; =>This Loop Header: Depth=1
                                        ;     Child Loop BB14_23 Depth 2
	s_wait_kmcnt 0x0
	global_load_b32 v3, v2, s[2:3] scale_offset
	s_mov_b32 s7, 0
                                        ; implicit-def: $sgpr8
	s_wait_loadcnt 0x0
	v_subrev_nc_u32_e32 v3, s39, v3
	s_delay_alu instid0(VALU_DEP_1) | instskip(NEXT) | instid1(VALU_DEP_1)
	v_mul_lo_u32 v4, 0x89, v3
	v_and_b32_e32 v4, 0xfff, v4
	s_branch .LBB14_23
.LBB14_21:                              ;   in Loop: Header=BB14_23 Depth=2
	s_or_b32 exec_lo, exec_lo, s10
	s_delay_alu instid0(SALU_CYCLE_1) | instskip(SKIP_1) | instid1(SALU_CYCLE_1)
	s_and_not1_b32 s8, s8, exec_lo
	s_and_b32 s10, s11, exec_lo
	s_or_b32 s8, s8, s10
.LBB14_22:                              ;   in Loop: Header=BB14_23 Depth=2
	s_or_b32 exec_lo, exec_lo, s9
	s_xor_b32 s9, s8, -1
	s_delay_alu instid0(SALU_CYCLE_1) | instskip(NEXT) | instid1(SALU_CYCLE_1)
	s_and_b32 s9, exec_lo, s9
	s_or_b32 s7, s9, s7
	s_delay_alu instid0(SALU_CYCLE_1)
	s_and_not1_b32 exec_lo, exec_lo, s7
	s_cbranch_execz .LBB14_19
.LBB14_23:                              ;   Parent Loop BB14_20 Depth=1
                                        ; =>  This Inner Loop Header: Depth=2
	s_delay_alu instid0(VALU_DEP_1)
	v_lshl_add_u32 v5, v4, 2, 0
	s_and_not1_b32 s8, s8, exec_lo
	s_mov_b32 s9, exec_lo
	ds_load_b32 v6, v5
	s_wait_dscnt 0x0
	v_cmpx_ne_u32_e64 v6, v3
	s_cbranch_execz .LBB14_22
; %bb.24:                               ;   in Loop: Header=BB14_23 Depth=2
	s_mov_b32 s10, exec_lo
	v_cmpx_ne_u32_e64 s33, v6
	s_xor_b32 s10, exec_lo, s10
; %bb.25:                               ;   in Loop: Header=BB14_23 Depth=2
	v_add_nc_u32_e32 v4, 1, v4
                                        ; implicit-def: $vgpr5
	s_delay_alu instid0(VALU_DEP_1)
	v_and_b32_e32 v4, 0xfff, v4
; %bb.26:                               ;   in Loop: Header=BB14_23 Depth=2
	s_or_saveexec_b32 s10, s10
	s_mov_b32 s11, -1
	s_xor_b32 exec_lo, exec_lo, s10
	s_cbranch_execz .LBB14_21
; %bb.27:                               ;   in Loop: Header=BB14_23 Depth=2
	v_mov_b32_e32 v6, s33
	ds_cmpstore_rtn_b32 v5, v5, v3, v6
	s_wait_dscnt 0x0
	v_cmp_ne_u32_e32 vcc_lo, s33, v5
	s_or_not1_b32 s11, vcc_lo, exec_lo
	s_branch .LBB14_21
.LBB14_28:
	s_or_b32 exec_lo, exec_lo, s5
.LBB14_29:
	s_wait_kmcnt 0x0
	s_load_b64 s[36:37], s[0:1], 0x48
	v_mbcnt_lo_u32_b32 v2, -1, 0
	v_lshrrev_b32_e32 v3, 3, v0
	s_wait_xcnt 0x0
	v_cmp_lt_u32_e64 s0, 31, v0
	v_cmp_lt_u32_e64 s1, 63, v0
	;; [unrolled: 1-line block ×3, first 2 shown]
	v_xor_b32_e32 v2, 31, v2
	v_and_b32_e32 v4, 0x7c, v3
	v_mov_b32_e32 v3, 0
	v_cmp_lt_u32_e64 s3, 0x7f, v0
	v_cmp_lt_u32_e64 s4, 0x9f, v0
	v_lshrrev_b32_e64 v2, v2, -1
	v_add_nc_u32_e32 v4, 0, v4
	v_cmp_lt_u32_e64 s5, 0xbf, v0
	v_cmp_lt_u32_e64 s6, 0xdf, v0
	;; [unrolled: 1-line block ×26, first 2 shown]
	v_or_b32_e32 v5, 0xfffffc00, v0
	v_mov_b32_e32 v6, 0
	s_mov_b32 s39, 0
	v_cmp_eq_u32_e32 vcc_lo, 0x3ff, v0
	s_barrier_signal -1
	s_barrier_wait -1
	s_branch .LBB14_31
.LBB14_30:                              ;   in Loop: Header=BB14_31 Depth=1
	s_or_b32 exec_lo, exec_lo, s31
	s_wait_dscnt 0x0
	s_barrier_signal -1
	s_barrier_wait -1
	ds_load_b32 v7, v3 offset:16508
	v_add_nc_u32_e32 v5, 0x400, v5
	v_add_nc_u32_e32 v1, 0x1000, v1
	s_delay_alu instid0(VALU_DEP_2)
	v_cmp_lt_u32_e64 s31, 0xbff, v5
	s_or_b32 s39, s31, s39
	s_wait_dscnt 0x0
	v_add_nc_u32_e32 v6, v7, v6
	s_and_not1_b32 exec_lo, exec_lo, s39
	s_cbranch_execz .LBB14_97
.LBB14_31:                              ; =>This Inner Loop Header: Depth=1
	ds_load_b32 v7, v1
	s_wait_dscnt 0x0
	s_barrier_signal -1
	s_barrier_wait -1
	v_cmp_gt_i32_e64 s31, s33, v7
	s_bcnt1_i32_b32 s41, s31
	s_delay_alu instid0(SALU_CYCLE_1) | instskip(NEXT) | instid1(VALU_DEP_1)
	v_dual_mov_b32 v9, s41 :: v_dual_bitop2_b32 v8, s31, v2 bitop3:0x40
	v_bcnt_u32_b32 v8, v8, 0
	ds_store_b32 v4, v9 offset:16384
	s_wait_dscnt 0x0
	s_barrier_signal -1
	s_barrier_wait -1
	s_and_saveexec_b32 s41, s0
	s_cbranch_execnz .LBB14_64
; %bb.32:                               ;   in Loop: Header=BB14_31 Depth=1
	s_or_b32 exec_lo, exec_lo, s41
	s_and_saveexec_b32 s41, s1
	s_cbranch_execnz .LBB14_65
.LBB14_33:                              ;   in Loop: Header=BB14_31 Depth=1
	s_or_b32 exec_lo, exec_lo, s41
	s_and_saveexec_b32 s41, s2
	s_cbranch_execnz .LBB14_66
.LBB14_34:                              ;   in Loop: Header=BB14_31 Depth=1
	s_or_b32 exec_lo, exec_lo, s41
	s_and_saveexec_b32 s41, s3
	s_cbranch_execnz .LBB14_67
.LBB14_35:                              ;   in Loop: Header=BB14_31 Depth=1
	s_or_b32 exec_lo, exec_lo, s41
	s_and_saveexec_b32 s41, s4
	s_cbranch_execnz .LBB14_68
.LBB14_36:                              ;   in Loop: Header=BB14_31 Depth=1
	s_or_b32 exec_lo, exec_lo, s41
	s_and_saveexec_b32 s41, s5
	s_cbranch_execnz .LBB14_69
.LBB14_37:                              ;   in Loop: Header=BB14_31 Depth=1
	s_or_b32 exec_lo, exec_lo, s41
	s_and_saveexec_b32 s41, s6
	s_cbranch_execnz .LBB14_70
.LBB14_38:                              ;   in Loop: Header=BB14_31 Depth=1
	s_or_b32 exec_lo, exec_lo, s41
	s_and_saveexec_b32 s41, s7
	s_cbranch_execnz .LBB14_71
.LBB14_39:                              ;   in Loop: Header=BB14_31 Depth=1
	s_or_b32 exec_lo, exec_lo, s41
	s_and_saveexec_b32 s41, s8
	s_cbranch_execnz .LBB14_72
.LBB14_40:                              ;   in Loop: Header=BB14_31 Depth=1
	s_or_b32 exec_lo, exec_lo, s41
	s_and_saveexec_b32 s41, s9
	s_cbranch_execnz .LBB14_73
.LBB14_41:                              ;   in Loop: Header=BB14_31 Depth=1
	s_or_b32 exec_lo, exec_lo, s41
	s_and_saveexec_b32 s41, s10
	s_cbranch_execnz .LBB14_74
.LBB14_42:                              ;   in Loop: Header=BB14_31 Depth=1
	s_or_b32 exec_lo, exec_lo, s41
	s_and_saveexec_b32 s41, s11
	s_cbranch_execnz .LBB14_75
.LBB14_43:                              ;   in Loop: Header=BB14_31 Depth=1
	s_or_b32 exec_lo, exec_lo, s41
	s_and_saveexec_b32 s41, s12
	s_cbranch_execnz .LBB14_76
.LBB14_44:                              ;   in Loop: Header=BB14_31 Depth=1
	s_or_b32 exec_lo, exec_lo, s41
	s_and_saveexec_b32 s41, s13
	s_cbranch_execnz .LBB14_77
.LBB14_45:                              ;   in Loop: Header=BB14_31 Depth=1
	s_or_b32 exec_lo, exec_lo, s41
	s_and_saveexec_b32 s41, s14
	s_cbranch_execnz .LBB14_78
.LBB14_46:                              ;   in Loop: Header=BB14_31 Depth=1
	s_or_b32 exec_lo, exec_lo, s41
	s_and_saveexec_b32 s41, s15
	s_cbranch_execnz .LBB14_79
.LBB14_47:                              ;   in Loop: Header=BB14_31 Depth=1
	s_or_b32 exec_lo, exec_lo, s41
	s_and_saveexec_b32 s41, s16
	s_cbranch_execnz .LBB14_80
.LBB14_48:                              ;   in Loop: Header=BB14_31 Depth=1
	s_or_b32 exec_lo, exec_lo, s41
	s_and_saveexec_b32 s41, s17
	s_cbranch_execnz .LBB14_81
.LBB14_49:                              ;   in Loop: Header=BB14_31 Depth=1
	s_or_b32 exec_lo, exec_lo, s41
	s_and_saveexec_b32 s41, s18
	s_cbranch_execnz .LBB14_82
.LBB14_50:                              ;   in Loop: Header=BB14_31 Depth=1
	s_or_b32 exec_lo, exec_lo, s41
	s_and_saveexec_b32 s41, s19
	s_cbranch_execnz .LBB14_83
.LBB14_51:                              ;   in Loop: Header=BB14_31 Depth=1
	s_or_b32 exec_lo, exec_lo, s41
	s_and_saveexec_b32 s41, s20
	s_cbranch_execnz .LBB14_84
.LBB14_52:                              ;   in Loop: Header=BB14_31 Depth=1
	s_or_b32 exec_lo, exec_lo, s41
	s_and_saveexec_b32 s41, s21
	s_cbranch_execnz .LBB14_85
.LBB14_53:                              ;   in Loop: Header=BB14_31 Depth=1
	s_or_b32 exec_lo, exec_lo, s41
	s_and_saveexec_b32 s41, s22
	s_cbranch_execnz .LBB14_86
.LBB14_54:                              ;   in Loop: Header=BB14_31 Depth=1
	s_or_b32 exec_lo, exec_lo, s41
	s_and_saveexec_b32 s41, s23
	s_cbranch_execnz .LBB14_87
.LBB14_55:                              ;   in Loop: Header=BB14_31 Depth=1
	s_or_b32 exec_lo, exec_lo, s41
	s_and_saveexec_b32 s41, s24
	s_cbranch_execnz .LBB14_88
.LBB14_56:                              ;   in Loop: Header=BB14_31 Depth=1
	s_or_b32 exec_lo, exec_lo, s41
	s_and_saveexec_b32 s41, s25
	s_cbranch_execnz .LBB14_89
.LBB14_57:                              ;   in Loop: Header=BB14_31 Depth=1
	s_or_b32 exec_lo, exec_lo, s41
	s_and_saveexec_b32 s41, s26
	s_cbranch_execnz .LBB14_90
.LBB14_58:                              ;   in Loop: Header=BB14_31 Depth=1
	s_or_b32 exec_lo, exec_lo, s41
	s_and_saveexec_b32 s41, s27
	s_cbranch_execnz .LBB14_91
.LBB14_59:                              ;   in Loop: Header=BB14_31 Depth=1
	s_or_b32 exec_lo, exec_lo, s41
	s_and_saveexec_b32 s41, s28
	s_cbranch_execnz .LBB14_92
.LBB14_60:                              ;   in Loop: Header=BB14_31 Depth=1
	s_or_b32 exec_lo, exec_lo, s41
	s_and_saveexec_b32 s41, s29
	s_cbranch_execnz .LBB14_93
.LBB14_61:                              ;   in Loop: Header=BB14_31 Depth=1
	s_or_b32 exec_lo, exec_lo, s41
	s_and_saveexec_b32 s41, s30
	s_cbranch_execnz .LBB14_94
.LBB14_62:                              ;   in Loop: Header=BB14_31 Depth=1
	s_or_b32 exec_lo, exec_lo, s41
	s_and_saveexec_b32 s41, s31
	s_cbranch_execnz .LBB14_95
.LBB14_63:                              ;   in Loop: Header=BB14_31 Depth=1
	s_or_b32 exec_lo, exec_lo, s41
	s_and_saveexec_b32 s31, vcc_lo
	s_cbranch_execz .LBB14_30
	s_branch .LBB14_96
.LBB14_64:                              ;   in Loop: Header=BB14_31 Depth=1
	ds_load_b32 v9, v3 offset:16384
	s_wait_dscnt 0x0
	v_add_nc_u32_e32 v8, v9, v8
	s_or_b32 exec_lo, exec_lo, s41
	s_and_saveexec_b32 s41, s1
	s_cbranch_execz .LBB14_33
.LBB14_65:                              ;   in Loop: Header=BB14_31 Depth=1
	ds_load_b32 v9, v3 offset:16388
	s_wait_dscnt 0x0
	v_add_nc_u32_e32 v8, v9, v8
	s_or_b32 exec_lo, exec_lo, s41
	s_and_saveexec_b32 s41, s2
	s_cbranch_execz .LBB14_34
.LBB14_66:                              ;   in Loop: Header=BB14_31 Depth=1
	ds_load_b32 v9, v3 offset:16392
	s_wait_dscnt 0x0
	v_add_nc_u32_e32 v8, v9, v8
	s_or_b32 exec_lo, exec_lo, s41
	s_and_saveexec_b32 s41, s3
	s_cbranch_execz .LBB14_35
.LBB14_67:                              ;   in Loop: Header=BB14_31 Depth=1
	ds_load_b32 v9, v3 offset:16396
	s_wait_dscnt 0x0
	v_add_nc_u32_e32 v8, v9, v8
	s_or_b32 exec_lo, exec_lo, s41
	s_and_saveexec_b32 s41, s4
	s_cbranch_execz .LBB14_36
.LBB14_68:                              ;   in Loop: Header=BB14_31 Depth=1
	ds_load_b32 v9, v3 offset:16400
	s_wait_dscnt 0x0
	v_add_nc_u32_e32 v8, v9, v8
	s_or_b32 exec_lo, exec_lo, s41
	s_and_saveexec_b32 s41, s5
	s_cbranch_execz .LBB14_37
.LBB14_69:                              ;   in Loop: Header=BB14_31 Depth=1
	ds_load_b32 v9, v3 offset:16404
	s_wait_dscnt 0x0
	v_add_nc_u32_e32 v8, v9, v8
	s_or_b32 exec_lo, exec_lo, s41
	s_and_saveexec_b32 s41, s6
	s_cbranch_execz .LBB14_38
.LBB14_70:                              ;   in Loop: Header=BB14_31 Depth=1
	ds_load_b32 v9, v3 offset:16408
	s_wait_dscnt 0x0
	v_add_nc_u32_e32 v8, v9, v8
	s_or_b32 exec_lo, exec_lo, s41
	s_and_saveexec_b32 s41, s7
	s_cbranch_execz .LBB14_39
.LBB14_71:                              ;   in Loop: Header=BB14_31 Depth=1
	ds_load_b32 v9, v3 offset:16412
	s_wait_dscnt 0x0
	v_add_nc_u32_e32 v8, v9, v8
	s_or_b32 exec_lo, exec_lo, s41
	s_and_saveexec_b32 s41, s8
	s_cbranch_execz .LBB14_40
.LBB14_72:                              ;   in Loop: Header=BB14_31 Depth=1
	ds_load_b32 v9, v3 offset:16416
	s_wait_dscnt 0x0
	v_add_nc_u32_e32 v8, v9, v8
	s_or_b32 exec_lo, exec_lo, s41
	s_and_saveexec_b32 s41, s9
	s_cbranch_execz .LBB14_41
.LBB14_73:                              ;   in Loop: Header=BB14_31 Depth=1
	ds_load_b32 v9, v3 offset:16420
	s_wait_dscnt 0x0
	v_add_nc_u32_e32 v8, v9, v8
	s_or_b32 exec_lo, exec_lo, s41
	s_and_saveexec_b32 s41, s10
	s_cbranch_execz .LBB14_42
.LBB14_74:                              ;   in Loop: Header=BB14_31 Depth=1
	ds_load_b32 v9, v3 offset:16424
	s_wait_dscnt 0x0
	v_add_nc_u32_e32 v8, v9, v8
	s_or_b32 exec_lo, exec_lo, s41
	s_and_saveexec_b32 s41, s11
	s_cbranch_execz .LBB14_43
.LBB14_75:                              ;   in Loop: Header=BB14_31 Depth=1
	ds_load_b32 v9, v3 offset:16428
	s_wait_dscnt 0x0
	v_add_nc_u32_e32 v8, v9, v8
	s_or_b32 exec_lo, exec_lo, s41
	s_and_saveexec_b32 s41, s12
	s_cbranch_execz .LBB14_44
.LBB14_76:                              ;   in Loop: Header=BB14_31 Depth=1
	ds_load_b32 v9, v3 offset:16432
	s_wait_dscnt 0x0
	v_add_nc_u32_e32 v8, v9, v8
	s_or_b32 exec_lo, exec_lo, s41
	s_and_saveexec_b32 s41, s13
	s_cbranch_execz .LBB14_45
.LBB14_77:                              ;   in Loop: Header=BB14_31 Depth=1
	ds_load_b32 v9, v3 offset:16436
	s_wait_dscnt 0x0
	v_add_nc_u32_e32 v8, v9, v8
	s_or_b32 exec_lo, exec_lo, s41
	s_and_saveexec_b32 s41, s14
	s_cbranch_execz .LBB14_46
.LBB14_78:                              ;   in Loop: Header=BB14_31 Depth=1
	ds_load_b32 v9, v3 offset:16440
	s_wait_dscnt 0x0
	v_add_nc_u32_e32 v8, v9, v8
	s_or_b32 exec_lo, exec_lo, s41
	s_and_saveexec_b32 s41, s15
	s_cbranch_execz .LBB14_47
.LBB14_79:                              ;   in Loop: Header=BB14_31 Depth=1
	ds_load_b32 v9, v3 offset:16444
	s_wait_dscnt 0x0
	v_add_nc_u32_e32 v8, v9, v8
	s_or_b32 exec_lo, exec_lo, s41
	s_and_saveexec_b32 s41, s16
	s_cbranch_execz .LBB14_48
.LBB14_80:                              ;   in Loop: Header=BB14_31 Depth=1
	ds_load_b32 v9, v3 offset:16448
	s_wait_dscnt 0x0
	v_add_nc_u32_e32 v8, v9, v8
	s_or_b32 exec_lo, exec_lo, s41
	s_and_saveexec_b32 s41, s17
	s_cbranch_execz .LBB14_49
.LBB14_81:                              ;   in Loop: Header=BB14_31 Depth=1
	ds_load_b32 v9, v3 offset:16452
	s_wait_dscnt 0x0
	v_add_nc_u32_e32 v8, v9, v8
	s_or_b32 exec_lo, exec_lo, s41
	s_and_saveexec_b32 s41, s18
	s_cbranch_execz .LBB14_50
.LBB14_82:                              ;   in Loop: Header=BB14_31 Depth=1
	ds_load_b32 v9, v3 offset:16456
	s_wait_dscnt 0x0
	v_add_nc_u32_e32 v8, v9, v8
	s_or_b32 exec_lo, exec_lo, s41
	s_and_saveexec_b32 s41, s19
	s_cbranch_execz .LBB14_51
.LBB14_83:                              ;   in Loop: Header=BB14_31 Depth=1
	ds_load_b32 v9, v3 offset:16460
	s_wait_dscnt 0x0
	v_add_nc_u32_e32 v8, v9, v8
	s_or_b32 exec_lo, exec_lo, s41
	s_and_saveexec_b32 s41, s20
	s_cbranch_execz .LBB14_52
.LBB14_84:                              ;   in Loop: Header=BB14_31 Depth=1
	ds_load_b32 v9, v3 offset:16464
	s_wait_dscnt 0x0
	v_add_nc_u32_e32 v8, v9, v8
	s_or_b32 exec_lo, exec_lo, s41
	s_and_saveexec_b32 s41, s21
	s_cbranch_execz .LBB14_53
.LBB14_85:                              ;   in Loop: Header=BB14_31 Depth=1
	ds_load_b32 v9, v3 offset:16468
	s_wait_dscnt 0x0
	v_add_nc_u32_e32 v8, v9, v8
	s_or_b32 exec_lo, exec_lo, s41
	s_and_saveexec_b32 s41, s22
	s_cbranch_execz .LBB14_54
.LBB14_86:                              ;   in Loop: Header=BB14_31 Depth=1
	ds_load_b32 v9, v3 offset:16472
	s_wait_dscnt 0x0
	v_add_nc_u32_e32 v8, v9, v8
	s_or_b32 exec_lo, exec_lo, s41
	s_and_saveexec_b32 s41, s23
	s_cbranch_execz .LBB14_55
.LBB14_87:                              ;   in Loop: Header=BB14_31 Depth=1
	ds_load_b32 v9, v3 offset:16476
	s_wait_dscnt 0x0
	v_add_nc_u32_e32 v8, v9, v8
	s_or_b32 exec_lo, exec_lo, s41
	s_and_saveexec_b32 s41, s24
	s_cbranch_execz .LBB14_56
.LBB14_88:                              ;   in Loop: Header=BB14_31 Depth=1
	ds_load_b32 v9, v3 offset:16480
	s_wait_dscnt 0x0
	v_add_nc_u32_e32 v8, v9, v8
	s_or_b32 exec_lo, exec_lo, s41
	s_and_saveexec_b32 s41, s25
	s_cbranch_execz .LBB14_57
.LBB14_89:                              ;   in Loop: Header=BB14_31 Depth=1
	ds_load_b32 v9, v3 offset:16484
	s_wait_dscnt 0x0
	v_add_nc_u32_e32 v8, v9, v8
	s_or_b32 exec_lo, exec_lo, s41
	s_and_saveexec_b32 s41, s26
	s_cbranch_execz .LBB14_58
.LBB14_90:                              ;   in Loop: Header=BB14_31 Depth=1
	ds_load_b32 v9, v3 offset:16488
	s_wait_dscnt 0x0
	v_add_nc_u32_e32 v8, v9, v8
	s_or_b32 exec_lo, exec_lo, s41
	s_and_saveexec_b32 s41, s27
	s_cbranch_execz .LBB14_59
.LBB14_91:                              ;   in Loop: Header=BB14_31 Depth=1
	ds_load_b32 v9, v3 offset:16492
	s_wait_dscnt 0x0
	v_add_nc_u32_e32 v8, v9, v8
	s_or_b32 exec_lo, exec_lo, s41
	s_and_saveexec_b32 s41, s28
	s_cbranch_execz .LBB14_60
.LBB14_92:                              ;   in Loop: Header=BB14_31 Depth=1
	ds_load_b32 v9, v3 offset:16496
	s_wait_dscnt 0x0
	v_add_nc_u32_e32 v8, v9, v8
	s_or_b32 exec_lo, exec_lo, s41
	s_and_saveexec_b32 s41, s29
	s_cbranch_execz .LBB14_61
.LBB14_93:                              ;   in Loop: Header=BB14_31 Depth=1
	ds_load_b32 v9, v3 offset:16500
	s_wait_dscnt 0x0
	v_add_nc_u32_e32 v8, v9, v8
	s_or_b32 exec_lo, exec_lo, s41
	s_and_saveexec_b32 s41, s30
	s_cbranch_execz .LBB14_62
.LBB14_94:                              ;   in Loop: Header=BB14_31 Depth=1
	ds_load_b32 v9, v3 offset:16504
	s_wait_dscnt 0x0
	v_add_nc_u32_e32 v8, v9, v8
	s_or_b32 exec_lo, exec_lo, s41
	s_and_saveexec_b32 s41, s31
	s_cbranch_execz .LBB14_63
.LBB14_95:                              ;   in Loop: Header=BB14_31 Depth=1
	s_delay_alu instid0(VALU_DEP_1) | instskip(NEXT) | instid1(VALU_DEP_1)
	v_dual_lshlrev_b32 v9, 2, v6 :: v_dual_lshlrev_b32 v10, 2, v8
	v_add_nc_u32_e32 v9, 0, v9
	s_delay_alu instid0(VALU_DEP_1)
	v_add3_u32 v9, v9, v10, -4
	ds_store_b32 v9, v7
	s_or_b32 exec_lo, exec_lo, s41
	s_and_saveexec_b32 s31, vcc_lo
	s_cbranch_execz .LBB14_30
.LBB14_96:                              ;   in Loop: Header=BB14_31 Depth=1
	ds_store_b32 v3, v8 offset:16508
	s_branch .LBB14_30
.LBB14_97:
	s_or_b32 exec_lo, exec_lo, s39
	s_ashr_i32 s41, s40, 31
	s_delay_alu instid0(SALU_CYCLE_1)
	s_lshl_b64 s[0:1], s[40:41], 2
	s_wait_kmcnt 0x0
	s_add_nc_u64 s[2:3], s[36:37], s[0:1]
	s_load_b64 s[0:1], s[2:3], 0x0
	s_wait_kmcnt 0x0
	s_sub_co_i32 s4, s1, s0
	s_mov_b32 s1, exec_lo
	v_cmpx_gt_i32_e64 s4, v0
	s_cbranch_execz .LBB14_111
; %bb.98:
	v_sub_co_u32 v1, s1, s4, 2
	s_sub_co_i32 s2, s0, s38
	s_xor_b32 s6, s1, -1
	s_and_b32 s5, s4, -2
	v_readfirstlane_b32 s3, v1
	s_lshr_b32 s0, s3, 1
	s_mov_b32 s3, 0
	s_add_co_i32 s0, s0, 1
	s_mov_b32 s11, s3
	s_and_b32 s1, s0, 7
	s_and_b32 s7, s0, -8
	s_cmp_lg_u32 s1, 0
	v_cmp_lt_u32_e64 s0, 13, v1
	s_cselect_b32 s8, -1, 0
	s_cmp_lg_u32 s4, s5
	s_cselect_b32 s9, -1, 0
	s_lshl_b32 s10, s1, 3
	s_branch .LBB14_100
.LBB14_99:                              ;   in Loop: Header=BB14_100 Depth=1
	v_add_nc_u32_e32 v0, 0x400, v0
	s_wait_dscnt 0x0
	v_add_nc_u32_e32 v1, s38, v1
	s_delay_alu instid0(VALU_DEP_2)
	v_cmp_le_i32_e32 vcc_lo, s4, v0
	global_store_b32 v2, v1, s[34:35] scale_offset
	s_or_b32 s11, vcc_lo, s11
	s_wait_xcnt 0x0
	s_and_not1_b32 exec_lo, exec_lo, s11
	s_cbranch_execz .LBB14_111
.LBB14_100:                             ; =>This Loop Header: Depth=1
                                        ;     Child Loop BB14_103 Depth 2
                                        ;     Child Loop BB14_106 Depth 2
	;; [unrolled: 1-line block ×3, first 2 shown]
	v_lshl_add_u32 v1, v0, 2, 0
	v_mov_b32_e32 v2, s2
	s_and_not1_b32 vcc_lo, exec_lo, s6
	s_mov_b32 s1, 0
	s_mov_b32 s12, -1
	ds_load_b32 v1, v1
	s_cbranch_vccnz .LBB14_108
; %bb.101:                              ;   in Loop: Header=BB14_100 Depth=1
	v_mov_b64_e32 v[2:3], s[2:3]
	s_and_not1_b32 vcc_lo, exec_lo, s0
	s_mov_b32 s12, 0
	s_cbranch_vccnz .LBB14_104
; %bb.102:                              ;   in Loop: Header=BB14_100 Depth=1
	v_dual_mov_b32 v2, s2 :: v_dual_mov_b32 v3, 0
	s_mov_b32 s13, 0
	s_mov_b32 s14, s7
.LBB14_103:                             ;   Parent Loop BB14_100 Depth=1
                                        ; =>  This Inner Loop Header: Depth=2
	v_mov_b32_e32 v18, s13
	s_add_co_i32 s14, s14, -8
	s_add_co_i32 s12, s12, 16
	s_add_co_i32 s13, s13, 64
	s_cmp_lg_u32 s14, 0
	ds_load_2addr_b32 v[4:5], v18 offset1:1
	ds_load_2addr_b32 v[6:7], v18 offset0:2 offset1:3
	ds_load_2addr_b32 v[8:9], v18 offset0:4 offset1:5
	;; [unrolled: 1-line block ×7, first 2 shown]
	s_wait_dscnt 0x7
	v_cmp_gt_i32_e32 vcc_lo, v1, v5
	s_wait_dscnt 0x5
	v_cmp_gt_i32_e64 s1, v1, v8
	v_cndmask_b32_e64 v5, 0, 1, vcc_lo
	v_cmp_gt_i32_e32 vcc_lo, v1, v4
	v_cndmask_b32_e64 v4, 0, 1, vcc_lo
	v_cmp_gt_i32_e32 vcc_lo, v1, v6
	v_cndmask_b32_e64 v6, 0, 1, s1
	v_cmp_gt_i32_e64 s1, v1, v9
	s_delay_alu instid0(VALU_DEP_4) | instskip(NEXT) | instid1(VALU_DEP_2)
	v_add_co_ci_u32_e64 v2, null, v2, v4, vcc_lo
	v_cndmask_b32_e64 v8, 0, 1, s1
	s_wait_dscnt 0x4
	v_cmp_gt_i32_e64 s1, v1, v11
	s_wait_dscnt 0x2
	v_cmp_gt_i32_e32 vcc_lo, v1, v14
	s_delay_alu instid0(VALU_DEP_2) | instskip(SKIP_4) | instid1(VALU_DEP_3)
	v_cndmask_b32_e64 v9, 0, 1, s1
	v_cmp_gt_i32_e64 s1, v1, v10
	v_add_co_ci_u32_e64 v2, null, v2, v6, vcc_lo
	s_wait_dscnt 0x1
	v_cmp_gt_i32_e32 vcc_lo, v1, v16
	v_cndmask_b32_e64 v10, 0, 1, s1
	v_cmp_gt_i32_e64 s1, v1, v12
	s_delay_alu instid0(VALU_DEP_2) | instskip(NEXT) | instid1(VALU_DEP_2)
	v_add_co_ci_u32_e64 v2, null, v2, v10, vcc_lo
	v_cndmask_b32_e64 v11, 0, 1, s1
	v_cmp_gt_i32_e64 s1, v1, v13
	s_wait_dscnt 0x0
	v_cmp_gt_i32_e32 vcc_lo, v1, v18
	s_delay_alu instid0(VALU_DEP_2) | instskip(SKIP_2) | instid1(VALU_DEP_2)
	v_cndmask_b32_e64 v12, 0, 1, s1
	v_cmp_gt_i32_e64 s1, v1, v7
	v_add_co_ci_u32_e64 v2, null, v2, v11, vcc_lo
	v_add_co_ci_u32_e64 v3, null, v3, v5, s1
	v_cmp_gt_i32_e64 s1, v1, v15
	s_delay_alu instid0(VALU_DEP_1) | instskip(SKIP_1) | instid1(VALU_DEP_1)
	v_add_co_ci_u32_e64 v3, null, v3, v8, s1
	v_cmp_gt_i32_e64 s1, v1, v17
	v_add_co_ci_u32_e64 v3, null, v3, v9, s1
	v_cmp_gt_i32_e64 s1, v1, v19
	s_delay_alu instid0(VALU_DEP_1)
	v_add_co_ci_u32_e64 v3, null, v3, v12, s1
	s_cbranch_scc1 .LBB14_103
.LBB14_104:                             ;   in Loop: Header=BB14_100 Depth=1
	s_and_not1_b32 vcc_lo, exec_lo, s8
	s_cbranch_vccnz .LBB14_107
; %bb.105:                              ;   in Loop: Header=BB14_100 Depth=1
	s_lshl_b32 s1, s12, 2
	s_mov_b32 s12, s10
	s_add_co_i32 s1, s1, 0
.LBB14_106:                             ;   Parent Loop BB14_100 Depth=1
                                        ; =>  This Inner Loop Header: Depth=2
	s_delay_alu instid0(SALU_CYCLE_1)
	v_mov_b32_e32 v4, s1
	s_add_co_i32 s12, s12, -8
	s_add_co_i32 s1, s1, 8
	s_cmp_lg_u32 s12, 0
	ds_load_2addr_b32 v[4:5], v4 offset1:1
	s_wait_dscnt 0x0
	v_cmp_gt_i32_e32 vcc_lo, v1, v5
	v_add_co_ci_u32_e64 v3, null, 0, v3, vcc_lo
	v_cmp_gt_i32_e32 vcc_lo, v1, v4
	v_add_co_ci_u32_e64 v2, null, 0, v2, vcc_lo
	s_cbranch_scc1 .LBB14_106
.LBB14_107:                             ;   in Loop: Header=BB14_100 Depth=1
	s_delay_alu instid0(VALU_DEP_1)
	v_add_nc_u32_e32 v2, v2, v3
	s_mov_b32 s1, s5
	s_mov_b32 s12, s9
.LBB14_108:                             ;   in Loop: Header=BB14_100 Depth=1
	s_delay_alu instid0(SALU_CYCLE_1)
	s_and_b32 vcc_lo, exec_lo, s12
	s_cbranch_vccz .LBB14_99
; %bb.109:                              ;   in Loop: Header=BB14_100 Depth=1
	s_lshl_b32 s12, s1, 2
	s_delay_alu instid0(SALU_CYCLE_1)
	s_add_co_i32 s12, s12, 0
.LBB14_110:                             ;   Parent Loop BB14_100 Depth=1
                                        ; =>  This Inner Loop Header: Depth=2
	s_delay_alu instid0(SALU_CYCLE_1)
	v_mov_b32_e32 v3, s12
	s_add_co_i32 s1, s1, 1
	s_add_co_i32 s12, s12, 4
	s_cmp_ge_i32 s1, s4
	ds_load_b32 v3, v3
	s_wait_dscnt 0x0
	v_cmp_gt_i32_e32 vcc_lo, v1, v3
	v_add_co_ci_u32_e64 v2, null, 0, v2, vcc_lo
	s_cbranch_scc0 .LBB14_110
	s_branch .LBB14_99
.LBB14_111:
	s_endpgm
	.section	.rodata,"a",@progbits
	.p2align	6, 0x0
	.amdhsa_kernel _ZN9rocsparseL35csrgemm_symbolic_fill_block_per_rowILj1024ELj64ELj4096ELj137ELj32EiiEEvT5_PKS1_S3_PKT4_S3_S6_S3_S6_S3_S6_PS1_21rocsparse_index_base_S8_S8_S8_bb
		.amdhsa_group_segment_fixed_size 0
		.amdhsa_private_segment_fixed_size 0
		.amdhsa_kernarg_size 108
		.amdhsa_user_sgpr_count 2
		.amdhsa_user_sgpr_dispatch_ptr 0
		.amdhsa_user_sgpr_queue_ptr 0
		.amdhsa_user_sgpr_kernarg_segment_ptr 1
		.amdhsa_user_sgpr_dispatch_id 0
		.amdhsa_user_sgpr_kernarg_preload_length 0
		.amdhsa_user_sgpr_kernarg_preload_offset 0
		.amdhsa_user_sgpr_private_segment_size 0
		.amdhsa_wavefront_size32 1
		.amdhsa_uses_dynamic_stack 0
		.amdhsa_enable_private_segment 0
		.amdhsa_system_sgpr_workgroup_id_x 1
		.amdhsa_system_sgpr_workgroup_id_y 0
		.amdhsa_system_sgpr_workgroup_id_z 0
		.amdhsa_system_sgpr_workgroup_info 0
		.amdhsa_system_vgpr_workitem_id 0
		.amdhsa_next_free_vgpr 20
		.amdhsa_next_free_sgpr 42
		.amdhsa_named_barrier_count 0
		.amdhsa_reserve_vcc 1
		.amdhsa_float_round_mode_32 0
		.amdhsa_float_round_mode_16_64 0
		.amdhsa_float_denorm_mode_32 3
		.amdhsa_float_denorm_mode_16_64 3
		.amdhsa_fp16_overflow 0
		.amdhsa_memory_ordered 1
		.amdhsa_forward_progress 1
		.amdhsa_inst_pref_size 30
		.amdhsa_round_robin_scheduling 0
		.amdhsa_exception_fp_ieee_invalid_op 0
		.amdhsa_exception_fp_denorm_src 0
		.amdhsa_exception_fp_ieee_div_zero 0
		.amdhsa_exception_fp_ieee_overflow 0
		.amdhsa_exception_fp_ieee_underflow 0
		.amdhsa_exception_fp_ieee_inexact 0
		.amdhsa_exception_int_div_zero 0
	.end_amdhsa_kernel
	.section	.text._ZN9rocsparseL35csrgemm_symbolic_fill_block_per_rowILj1024ELj64ELj4096ELj137ELj32EiiEEvT5_PKS1_S3_PKT4_S3_S6_S3_S6_S3_S6_PS1_21rocsparse_index_base_S8_S8_S8_bb,"axG",@progbits,_ZN9rocsparseL35csrgemm_symbolic_fill_block_per_rowILj1024ELj64ELj4096ELj137ELj32EiiEEvT5_PKS1_S3_PKT4_S3_S6_S3_S6_S3_S6_PS1_21rocsparse_index_base_S8_S8_S8_bb,comdat
.Lfunc_end14:
	.size	_ZN9rocsparseL35csrgemm_symbolic_fill_block_per_rowILj1024ELj64ELj4096ELj137ELj32EiiEEvT5_PKS1_S3_PKT4_S3_S6_S3_S6_S3_S6_PS1_21rocsparse_index_base_S8_S8_S8_bb, .Lfunc_end14-_ZN9rocsparseL35csrgemm_symbolic_fill_block_per_rowILj1024ELj64ELj4096ELj137ELj32EiiEEvT5_PKS1_S3_PKT4_S3_S6_S3_S6_S3_S6_PS1_21rocsparse_index_base_S8_S8_S8_bb
                                        ; -- End function
	.set _ZN9rocsparseL35csrgemm_symbolic_fill_block_per_rowILj1024ELj64ELj4096ELj137ELj32EiiEEvT5_PKS1_S3_PKT4_S3_S6_S3_S6_S3_S6_PS1_21rocsparse_index_base_S8_S8_S8_bb.num_vgpr, 20
	.set _ZN9rocsparseL35csrgemm_symbolic_fill_block_per_rowILj1024ELj64ELj4096ELj137ELj32EiiEEvT5_PKS1_S3_PKT4_S3_S6_S3_S6_S3_S6_PS1_21rocsparse_index_base_S8_S8_S8_bb.num_agpr, 0
	.set _ZN9rocsparseL35csrgemm_symbolic_fill_block_per_rowILj1024ELj64ELj4096ELj137ELj32EiiEEvT5_PKS1_S3_PKT4_S3_S6_S3_S6_S3_S6_PS1_21rocsparse_index_base_S8_S8_S8_bb.numbered_sgpr, 42
	.set _ZN9rocsparseL35csrgemm_symbolic_fill_block_per_rowILj1024ELj64ELj4096ELj137ELj32EiiEEvT5_PKS1_S3_PKT4_S3_S6_S3_S6_S3_S6_PS1_21rocsparse_index_base_S8_S8_S8_bb.num_named_barrier, 0
	.set _ZN9rocsparseL35csrgemm_symbolic_fill_block_per_rowILj1024ELj64ELj4096ELj137ELj32EiiEEvT5_PKS1_S3_PKT4_S3_S6_S3_S6_S3_S6_PS1_21rocsparse_index_base_S8_S8_S8_bb.private_seg_size, 0
	.set _ZN9rocsparseL35csrgemm_symbolic_fill_block_per_rowILj1024ELj64ELj4096ELj137ELj32EiiEEvT5_PKS1_S3_PKT4_S3_S6_S3_S6_S3_S6_PS1_21rocsparse_index_base_S8_S8_S8_bb.uses_vcc, 1
	.set _ZN9rocsparseL35csrgemm_symbolic_fill_block_per_rowILj1024ELj64ELj4096ELj137ELj32EiiEEvT5_PKS1_S3_PKT4_S3_S6_S3_S6_S3_S6_PS1_21rocsparse_index_base_S8_S8_S8_bb.uses_flat_scratch, 0
	.set _ZN9rocsparseL35csrgemm_symbolic_fill_block_per_rowILj1024ELj64ELj4096ELj137ELj32EiiEEvT5_PKS1_S3_PKT4_S3_S6_S3_S6_S3_S6_PS1_21rocsparse_index_base_S8_S8_S8_bb.has_dyn_sized_stack, 0
	.set _ZN9rocsparseL35csrgemm_symbolic_fill_block_per_rowILj1024ELj64ELj4096ELj137ELj32EiiEEvT5_PKS1_S3_PKT4_S3_S6_S3_S6_S3_S6_PS1_21rocsparse_index_base_S8_S8_S8_bb.has_recursion, 0
	.set _ZN9rocsparseL35csrgemm_symbolic_fill_block_per_rowILj1024ELj64ELj4096ELj137ELj32EiiEEvT5_PKS1_S3_PKT4_S3_S6_S3_S6_S3_S6_PS1_21rocsparse_index_base_S8_S8_S8_bb.has_indirect_call, 0
	.section	.AMDGPU.csdata,"",@progbits
; Kernel info:
; codeLenInByte = 3784
; TotalNumSgprs: 44
; NumVgprs: 20
; ScratchSize: 0
; MemoryBound: 0
; FloatMode: 240
; IeeeMode: 1
; LDSByteSize: 0 bytes/workgroup (compile time only)
; SGPRBlocks: 0
; VGPRBlocks: 1
; NumSGPRsForWavesPerEU: 44
; NumVGPRsForWavesPerEU: 20
; NamedBarCnt: 0
; Occupancy: 16
; WaveLimiterHint : 1
; COMPUTE_PGM_RSRC2:SCRATCH_EN: 0
; COMPUTE_PGM_RSRC2:USER_SGPR: 2
; COMPUTE_PGM_RSRC2:TRAP_HANDLER: 0
; COMPUTE_PGM_RSRC2:TGID_X_EN: 1
; COMPUTE_PGM_RSRC2:TGID_Y_EN: 0
; COMPUTE_PGM_RSRC2:TGID_Z_EN: 0
; COMPUTE_PGM_RSRC2:TIDIG_COMP_CNT: 0
	.section	.text._ZN9rocsparseL35csrgemm_symbolic_fill_block_per_rowILj1024ELj64ELj4096ELj137ELj64EiiEEvT5_PKS1_S3_PKT4_S3_S6_S3_S6_S3_S6_PS1_21rocsparse_index_base_S8_S8_S8_bb,"axG",@progbits,_ZN9rocsparseL35csrgemm_symbolic_fill_block_per_rowILj1024ELj64ELj4096ELj137ELj64EiiEEvT5_PKS1_S3_PKT4_S3_S6_S3_S6_S3_S6_PS1_21rocsparse_index_base_S8_S8_S8_bb,comdat
	.globl	_ZN9rocsparseL35csrgemm_symbolic_fill_block_per_rowILj1024ELj64ELj4096ELj137ELj64EiiEEvT5_PKS1_S3_PKT4_S3_S6_S3_S6_S3_S6_PS1_21rocsparse_index_base_S8_S8_S8_bb ; -- Begin function _ZN9rocsparseL35csrgemm_symbolic_fill_block_per_rowILj1024ELj64ELj4096ELj137ELj64EiiEEvT5_PKS1_S3_PKT4_S3_S6_S3_S6_S3_S6_PS1_21rocsparse_index_base_S8_S8_S8_bb
	.p2align	8
	.type	_ZN9rocsparseL35csrgemm_symbolic_fill_block_per_rowILj1024ELj64ELj4096ELj137ELj64EiiEEvT5_PKS1_S3_PKT4_S3_S6_S3_S6_S3_S6_PS1_21rocsparse_index_base_S8_S8_S8_bb,@function
_ZN9rocsparseL35csrgemm_symbolic_fill_block_per_rowILj1024ELj64ELj4096ELj137ELj64EiiEEvT5_PKS1_S3_PKT4_S3_S6_S3_S6_S3_S6_PS1_21rocsparse_index_base_S8_S8_S8_bb: ; @_ZN9rocsparseL35csrgemm_symbolic_fill_block_per_rowILj1024ELj64ELj4096ELj137ELj64EiiEEvT5_PKS1_S3_PKT4_S3_S6_S3_S6_S3_S6_PS1_21rocsparse_index_base_S8_S8_S8_bb
; %bb.0:
	s_clause 0x1
	s_load_b32 s24, s[0:1], 0x0
	s_load_b128 s[4:7], s[0:1], 0x8
	v_lshl_add_u32 v1, v0, 2, 0
	s_bfe_u32 s3, ttmp6, 0x4000c
	s_load_b32 s8, s[0:1], 0x68
	s_add_co_i32 s3, s3, 1
	s_delay_alu instid0(SALU_CYCLE_1)
	s_mul_i32 s3, ttmp9, s3
	s_wait_kmcnt 0x0
	v_dual_mov_b32 v2, s24 :: v_dual_mov_b32 v3, s24
	v_dual_mov_b32 v4, s24 :: v_dual_mov_b32 v5, s24
	ds_store_2addr_stride64_b32 v1, v2, v3 offset1:16
	ds_store_2addr_stride64_b32 v1, v4, v5 offset0:32 offset1:48
	s_wait_dscnt 0x0
	s_barrier_signal -1
	s_barrier_wait -1
	s_load_b32 s2, s[4:5], 0x0
	s_wait_xcnt 0x0
	s_and_b32 s4, ttmp6, 15
	s_getreg_b32 s5, hwreg(HW_REG_IB_STS2, 6, 4)
	s_add_co_i32 s4, s4, s3
	s_cmp_eq_u32 s5, 0
	v_lshrrev_b32_e32 v2, 6, v0
	s_cselect_b32 s3, ttmp9, s4
	s_wait_kmcnt 0x0
	s_add_co_i32 s2, s2, s3
	s_load_b128 s[16:19], s[0:1], 0x58
	s_load_b32 s20, s[6:7], s2 offset:0x0 scale_offset
	s_bitcmp0_b32 s8, 0
	s_cbranch_scc1 .LBB15_16
; %bb.1:
	s_wait_xcnt 0x0
	s_load_b64 s[2:3], s[0:1], 0x18
	s_wait_kmcnt 0x0
	s_ashr_i32 s21, s20, 31
	v_subrev_nc_u32_e32 v3, s16, v2
	s_lshl_b64 s[4:5], s[20:21], 2
	s_mov_b32 s10, exec_lo
	s_add_nc_u64 s[2:3], s[2:3], s[4:5]
	s_load_b64 s[4:5], s[2:3], 0x0
	s_wait_kmcnt 0x0
	v_add_nc_u32_e32 v3, s4, v3
	s_sub_co_i32 s9, s5, s16
	s_delay_alu instid0(VALU_DEP_1) | instid1(SALU_CYCLE_1)
	v_cmpx_gt_i32_e64 s9, v3
	s_cbranch_execz .LBB15_15
; %bb.2:
	s_clause 0x1
	s_load_b128 s[4:7], s[0:1], 0x20
	s_load_b64 s[2:3], s[0:1], 0x30
	v_and_b32_e32 v4, 63, v0
	s_mov_b32 s11, 0
	s_delay_alu instid0(VALU_DEP_1)
	v_subrev_nc_u32_e32 v4, s17, v4
	s_branch .LBB15_4
.LBB15_3:                               ;   in Loop: Header=BB15_4 Depth=1
	s_or_b32 exec_lo, exec_lo, s12
	v_add_nc_u32_e32 v3, 16, v3
	s_delay_alu instid0(VALU_DEP_1) | instskip(SKIP_1) | instid1(SALU_CYCLE_1)
	v_cmp_le_i32_e32 vcc_lo, s9, v3
	s_or_b32 s11, vcc_lo, s11
	s_and_not1_b32 exec_lo, exec_lo, s11
	s_cbranch_execz .LBB15_15
.LBB15_4:                               ; =>This Loop Header: Depth=1
                                        ;     Child Loop BB15_7 Depth 2
                                        ;       Child Loop BB15_10 Depth 3
	s_wait_kmcnt 0x0
	global_load_b32 v5, v3, s[4:5] scale_offset
	s_mov_b32 s12, exec_lo
	s_wait_loadcnt 0x0
	v_subrev_nc_u32_e32 v6, s16, v5
	s_delay_alu instid0(VALU_DEP_1) | instskip(NEXT) | instid1(VALU_DEP_1)
	v_ashrrev_i32_e32 v7, 31, v6
	v_lshl_add_u64 v[6:7], v[6:7], 2, s[6:7]
	global_load_b64 v[6:7], v[6:7], off
	s_wait_loadcnt 0x0
	v_subrev_nc_u32_e32 v5, s17, v7
	v_add_nc_u32_e32 v6, v6, v4
	s_delay_alu instid0(VALU_DEP_1)
	v_cmpx_lt_i32_e64 v6, v5
	s_cbranch_execz .LBB15_3
; %bb.5:                                ;   in Loop: Header=BB15_4 Depth=1
	s_mov_b32 s13, 0
	s_branch .LBB15_7
.LBB15_6:                               ;   in Loop: Header=BB15_7 Depth=2
	s_or_b32 exec_lo, exec_lo, s14
	v_add_nc_u32_e32 v6, 64, v6
	s_delay_alu instid0(VALU_DEP_1) | instskip(SKIP_1) | instid1(SALU_CYCLE_1)
	v_cmp_ge_i32_e32 vcc_lo, v6, v5
	s_or_b32 s13, vcc_lo, s13
	s_and_not1_b32 exec_lo, exec_lo, s13
	s_cbranch_execz .LBB15_3
.LBB15_7:                               ;   Parent Loop BB15_4 Depth=1
                                        ; =>  This Loop Header: Depth=2
                                        ;       Child Loop BB15_10 Depth 3
	global_load_b32 v7, v6, s[2:3] scale_offset
	s_mov_b32 s14, 0
                                        ; implicit-def: $sgpr15
	s_wait_loadcnt 0x0
	v_subrev_nc_u32_e32 v7, s17, v7
	s_delay_alu instid0(VALU_DEP_1) | instskip(NEXT) | instid1(VALU_DEP_1)
	v_mul_lo_u32 v8, 0x89, v7
	v_and_b32_e32 v8, 0xfff, v8
	s_branch .LBB15_10
.LBB15_8:                               ;   in Loop: Header=BB15_10 Depth=3
	s_or_b32 exec_lo, exec_lo, s22
	s_delay_alu instid0(SALU_CYCLE_1) | instskip(SKIP_1) | instid1(SALU_CYCLE_1)
	s_and_not1_b32 s15, s15, exec_lo
	s_and_b32 s22, s23, exec_lo
	s_or_b32 s15, s15, s22
.LBB15_9:                               ;   in Loop: Header=BB15_10 Depth=3
	s_or_b32 exec_lo, exec_lo, s21
	s_xor_b32 s21, s15, -1
	s_delay_alu instid0(SALU_CYCLE_1) | instskip(NEXT) | instid1(SALU_CYCLE_1)
	s_and_b32 s21, exec_lo, s21
	s_or_b32 s14, s21, s14
	s_delay_alu instid0(SALU_CYCLE_1)
	s_and_not1_b32 exec_lo, exec_lo, s14
	s_cbranch_execz .LBB15_6
.LBB15_10:                              ;   Parent Loop BB15_4 Depth=1
                                        ;     Parent Loop BB15_7 Depth=2
                                        ; =>    This Inner Loop Header: Depth=3
	s_delay_alu instid0(VALU_DEP_1)
	v_lshl_add_u32 v9, v8, 2, 0
	s_and_not1_b32 s15, s15, exec_lo
	s_mov_b32 s21, exec_lo
	ds_load_b32 v10, v9
	s_wait_dscnt 0x0
	v_cmpx_ne_u32_e64 v10, v7
	s_cbranch_execz .LBB15_9
; %bb.11:                               ;   in Loop: Header=BB15_10 Depth=3
	s_mov_b32 s22, exec_lo
	v_cmpx_ne_u32_e64 s24, v10
	s_xor_b32 s22, exec_lo, s22
; %bb.12:                               ;   in Loop: Header=BB15_10 Depth=3
	v_add_nc_u32_e32 v8, 1, v8
                                        ; implicit-def: $vgpr9
	s_delay_alu instid0(VALU_DEP_1)
	v_and_b32_e32 v8, 0xfff, v8
; %bb.13:                               ;   in Loop: Header=BB15_10 Depth=3
	s_or_saveexec_b32 s22, s22
	s_mov_b32 s23, -1
	s_xor_b32 exec_lo, exec_lo, s22
	s_cbranch_execz .LBB15_8
; %bb.14:                               ;   in Loop: Header=BB15_10 Depth=3
	v_mov_b32_e32 v10, s24
	ds_cmpstore_rtn_b32 v9, v9, v7, v10
	s_wait_dscnt 0x0
	v_cmp_ne_u32_e32 vcc_lo, s24, v9
	s_or_not1_b32 s23, vcc_lo, exec_lo
	s_branch .LBB15_8
.LBB15_15:
	s_or_b32 exec_lo, exec_lo, s10
.LBB15_16:
	s_wait_kmcnt 0x0
	s_load_b64 s[16:17], s[0:1], 0x50
	s_bfe_u32 s2, s8, 0x10008
	s_delay_alu instid0(SALU_CYCLE_1)
	s_cmp_eq_u32 s2, 0
	s_cbranch_scc1 .LBB15_29
; %bb.17:
	s_load_b64 s[2:3], s[0:1], 0x38
	s_ashr_i32 s21, s20, 31
	v_subrev_nc_u32_e32 v3, s19, v0
	s_lshl_b64 s[4:5], s[20:21], 2
	s_wait_kmcnt 0x0
	s_add_nc_u64 s[2:3], s[2:3], s[4:5]
	s_load_b64 s[4:5], s[2:3], 0x0
	s_wait_kmcnt 0x0
	v_add_nc_u32_e32 v3, s4, v3
	s_sub_co_i32 s4, s5, s19
	s_mov_b32 s5, exec_lo
	s_delay_alu instid0(VALU_DEP_1)
	v_cmpx_gt_i32_e64 s4, v3
	s_cbranch_execz .LBB15_28
; %bb.18:
	s_load_b64 s[2:3], s[0:1], 0x40
	s_mov_b32 s6, 0
	s_branch .LBB15_20
.LBB15_19:                              ;   in Loop: Header=BB15_20 Depth=1
	s_or_b32 exec_lo, exec_lo, s7
	v_add_nc_u32_e32 v3, 0x400, v3
	s_delay_alu instid0(VALU_DEP_1) | instskip(SKIP_1) | instid1(SALU_CYCLE_1)
	v_cmp_le_i32_e32 vcc_lo, s4, v3
	s_or_b32 s6, vcc_lo, s6
	s_and_not1_b32 exec_lo, exec_lo, s6
	s_cbranch_execz .LBB15_28
.LBB15_20:                              ; =>This Loop Header: Depth=1
                                        ;     Child Loop BB15_23 Depth 2
	s_wait_kmcnt 0x0
	global_load_b32 v4, v3, s[2:3] scale_offset
	s_mov_b32 s7, 0
                                        ; implicit-def: $sgpr8
	s_wait_loadcnt 0x0
	v_subrev_nc_u32_e32 v4, s19, v4
	s_delay_alu instid0(VALU_DEP_1) | instskip(NEXT) | instid1(VALU_DEP_1)
	v_mul_lo_u32 v5, 0x89, v4
	v_and_b32_e32 v5, 0xfff, v5
	s_branch .LBB15_23
.LBB15_21:                              ;   in Loop: Header=BB15_23 Depth=2
	s_or_b32 exec_lo, exec_lo, s10
	s_delay_alu instid0(SALU_CYCLE_1) | instskip(SKIP_1) | instid1(SALU_CYCLE_1)
	s_and_not1_b32 s8, s8, exec_lo
	s_and_b32 s10, s11, exec_lo
	s_or_b32 s8, s8, s10
.LBB15_22:                              ;   in Loop: Header=BB15_23 Depth=2
	s_or_b32 exec_lo, exec_lo, s9
	s_xor_b32 s9, s8, -1
	s_delay_alu instid0(SALU_CYCLE_1) | instskip(NEXT) | instid1(SALU_CYCLE_1)
	s_and_b32 s9, exec_lo, s9
	s_or_b32 s7, s9, s7
	s_delay_alu instid0(SALU_CYCLE_1)
	s_and_not1_b32 exec_lo, exec_lo, s7
	s_cbranch_execz .LBB15_19
.LBB15_23:                              ;   Parent Loop BB15_20 Depth=1
                                        ; =>  This Inner Loop Header: Depth=2
	s_delay_alu instid0(VALU_DEP_1)
	v_lshl_add_u32 v6, v5, 2, 0
	s_and_not1_b32 s8, s8, exec_lo
	s_mov_b32 s9, exec_lo
	ds_load_b32 v7, v6
	s_wait_dscnt 0x0
	v_cmpx_ne_u32_e64 v7, v4
	s_cbranch_execz .LBB15_22
; %bb.24:                               ;   in Loop: Header=BB15_23 Depth=2
	s_mov_b32 s10, exec_lo
	v_cmpx_ne_u32_e64 s24, v7
	s_xor_b32 s10, exec_lo, s10
; %bb.25:                               ;   in Loop: Header=BB15_23 Depth=2
	v_add_nc_u32_e32 v5, 1, v5
                                        ; implicit-def: $vgpr6
	s_delay_alu instid0(VALU_DEP_1)
	v_and_b32_e32 v5, 0xfff, v5
; %bb.26:                               ;   in Loop: Header=BB15_23 Depth=2
	s_or_saveexec_b32 s10, s10
	s_mov_b32 s11, -1
	s_xor_b32 exec_lo, exec_lo, s10
	s_cbranch_execz .LBB15_21
; %bb.27:                               ;   in Loop: Header=BB15_23 Depth=2
	v_mov_b32_e32 v7, s24
	ds_cmpstore_rtn_b32 v6, v6, v4, v7
	s_wait_dscnt 0x0
	v_cmp_ne_u32_e32 vcc_lo, s24, v6
	s_or_not1_b32 s11, vcc_lo, exec_lo
	s_branch .LBB15_21
.LBB15_28:
	s_or_b32 exec_lo, exec_lo, s5
.LBB15_29:
	s_load_b64 s[22:23], s[0:1], 0x48
	v_mbcnt_lo_u32_b32 v5, -1, 0
	v_mov_b32_e32 v3, 0
	v_lshl_add_u32 v4, v2, 2, 0
	s_wait_xcnt 0x0
	v_cmp_lt_u32_e64 s0, 63, v0
	v_cmp_lt_u32_e64 s1, 0x7f, v0
	v_xor_b32_e32 v2, 31, v5
	v_cmp_lt_u32_e64 s2, 0xbf, v0
	v_cmp_lt_u32_e64 s3, 0xff, v0
	;; [unrolled: 1-line block ×4, first 2 shown]
	v_lshrrev_b32_e64 v2, v2, -1
	v_cmp_lt_u32_e64 s6, 0x1bf, v0
	v_cmp_lt_u32_e64 s7, 0x1ff, v0
	;; [unrolled: 1-line block ×9, first 2 shown]
	v_or_b32_e32 v5, 0xfffffc00, v0
	v_mov_b32_e32 v6, 0
	s_mov_b32 s19, 0
	v_cmp_eq_u32_e32 vcc_lo, 0x3ff, v0
	s_barrier_signal -1
	s_barrier_wait -1
	s_branch .LBB15_31
.LBB15_30:                              ;   in Loop: Header=BB15_31 Depth=1
	s_or_b32 exec_lo, exec_lo, s15
	s_wait_dscnt 0x0
	s_barrier_signal -1
	s_barrier_wait -1
	ds_load_b32 v7, v3 offset:16444
	v_add_nc_u32_e32 v5, 0x400, v5
	v_add_nc_u32_e32 v1, 0x1000, v1
	s_delay_alu instid0(VALU_DEP_2)
	v_cmp_lt_u32_e64 s15, 0xbff, v5
	s_or_b32 s19, s15, s19
	s_wait_dscnt 0x0
	v_add_nc_u32_e32 v6, v7, v6
	s_and_not1_b32 exec_lo, exec_lo, s19
	s_cbranch_execz .LBB15_65
.LBB15_31:                              ; =>This Inner Loop Header: Depth=1
	ds_load_b32 v7, v1
	s_wait_dscnt 0x0
	s_barrier_signal -1
	s_barrier_wait -1
	v_cmp_gt_i32_e64 s15, s24, v7
	s_bcnt1_i32_b32 s21, s15
	s_delay_alu instid0(SALU_CYCLE_1) | instskip(NEXT) | instid1(VALU_DEP_1)
	v_dual_mov_b32 v9, s21 :: v_dual_bitop2_b32 v8, s15, v2 bitop3:0x40
	v_bcnt_u32_b32 v8, v8, 0
	ds_store_b32 v4, v9 offset:16384
	s_wait_dscnt 0x0
	s_barrier_signal -1
	s_barrier_wait -1
	s_and_saveexec_b32 s21, s0
	s_cbranch_execnz .LBB15_48
; %bb.32:                               ;   in Loop: Header=BB15_31 Depth=1
	s_or_b32 exec_lo, exec_lo, s21
	s_and_saveexec_b32 s21, s1
	s_cbranch_execnz .LBB15_49
.LBB15_33:                              ;   in Loop: Header=BB15_31 Depth=1
	s_or_b32 exec_lo, exec_lo, s21
	s_and_saveexec_b32 s21, s2
	s_cbranch_execnz .LBB15_50
.LBB15_34:                              ;   in Loop: Header=BB15_31 Depth=1
	s_or_b32 exec_lo, exec_lo, s21
	s_and_saveexec_b32 s21, s3
	s_cbranch_execnz .LBB15_51
.LBB15_35:                              ;   in Loop: Header=BB15_31 Depth=1
	s_or_b32 exec_lo, exec_lo, s21
	s_and_saveexec_b32 s21, s4
	s_cbranch_execnz .LBB15_52
.LBB15_36:                              ;   in Loop: Header=BB15_31 Depth=1
	s_or_b32 exec_lo, exec_lo, s21
	s_and_saveexec_b32 s21, s5
	s_cbranch_execnz .LBB15_53
.LBB15_37:                              ;   in Loop: Header=BB15_31 Depth=1
	s_or_b32 exec_lo, exec_lo, s21
	s_and_saveexec_b32 s21, s6
	s_cbranch_execnz .LBB15_54
.LBB15_38:                              ;   in Loop: Header=BB15_31 Depth=1
	s_or_b32 exec_lo, exec_lo, s21
	s_and_saveexec_b32 s21, s7
	s_cbranch_execnz .LBB15_55
.LBB15_39:                              ;   in Loop: Header=BB15_31 Depth=1
	s_or_b32 exec_lo, exec_lo, s21
	s_and_saveexec_b32 s21, s8
	s_cbranch_execnz .LBB15_56
.LBB15_40:                              ;   in Loop: Header=BB15_31 Depth=1
	s_or_b32 exec_lo, exec_lo, s21
	s_and_saveexec_b32 s21, s9
	s_cbranch_execnz .LBB15_57
.LBB15_41:                              ;   in Loop: Header=BB15_31 Depth=1
	s_or_b32 exec_lo, exec_lo, s21
	s_and_saveexec_b32 s21, s10
	s_cbranch_execnz .LBB15_58
.LBB15_42:                              ;   in Loop: Header=BB15_31 Depth=1
	s_or_b32 exec_lo, exec_lo, s21
	s_and_saveexec_b32 s21, s11
	s_cbranch_execnz .LBB15_59
.LBB15_43:                              ;   in Loop: Header=BB15_31 Depth=1
	s_or_b32 exec_lo, exec_lo, s21
	s_and_saveexec_b32 s21, s12
	s_cbranch_execnz .LBB15_60
.LBB15_44:                              ;   in Loop: Header=BB15_31 Depth=1
	s_or_b32 exec_lo, exec_lo, s21
	s_and_saveexec_b32 s21, s13
	s_cbranch_execnz .LBB15_61
.LBB15_45:                              ;   in Loop: Header=BB15_31 Depth=1
	s_or_b32 exec_lo, exec_lo, s21
	s_and_saveexec_b32 s21, s14
	s_cbranch_execnz .LBB15_62
.LBB15_46:                              ;   in Loop: Header=BB15_31 Depth=1
	s_or_b32 exec_lo, exec_lo, s21
	s_and_saveexec_b32 s21, s15
	s_cbranch_execnz .LBB15_63
.LBB15_47:                              ;   in Loop: Header=BB15_31 Depth=1
	s_or_b32 exec_lo, exec_lo, s21
	s_and_saveexec_b32 s15, vcc_lo
	s_cbranch_execz .LBB15_30
	s_branch .LBB15_64
.LBB15_48:                              ;   in Loop: Header=BB15_31 Depth=1
	ds_load_b32 v9, v3 offset:16384
	s_wait_dscnt 0x0
	v_add_nc_u32_e32 v8, v9, v8
	s_or_b32 exec_lo, exec_lo, s21
	s_and_saveexec_b32 s21, s1
	s_cbranch_execz .LBB15_33
.LBB15_49:                              ;   in Loop: Header=BB15_31 Depth=1
	ds_load_b32 v9, v3 offset:16388
	s_wait_dscnt 0x0
	v_add_nc_u32_e32 v8, v9, v8
	s_or_b32 exec_lo, exec_lo, s21
	s_and_saveexec_b32 s21, s2
	s_cbranch_execz .LBB15_34
.LBB15_50:                              ;   in Loop: Header=BB15_31 Depth=1
	ds_load_b32 v9, v3 offset:16392
	s_wait_dscnt 0x0
	v_add_nc_u32_e32 v8, v9, v8
	s_or_b32 exec_lo, exec_lo, s21
	s_and_saveexec_b32 s21, s3
	s_cbranch_execz .LBB15_35
.LBB15_51:                              ;   in Loop: Header=BB15_31 Depth=1
	ds_load_b32 v9, v3 offset:16396
	s_wait_dscnt 0x0
	v_add_nc_u32_e32 v8, v9, v8
	s_or_b32 exec_lo, exec_lo, s21
	s_and_saveexec_b32 s21, s4
	s_cbranch_execz .LBB15_36
.LBB15_52:                              ;   in Loop: Header=BB15_31 Depth=1
	ds_load_b32 v9, v3 offset:16400
	s_wait_dscnt 0x0
	v_add_nc_u32_e32 v8, v9, v8
	s_or_b32 exec_lo, exec_lo, s21
	s_and_saveexec_b32 s21, s5
	s_cbranch_execz .LBB15_37
.LBB15_53:                              ;   in Loop: Header=BB15_31 Depth=1
	ds_load_b32 v9, v3 offset:16404
	s_wait_dscnt 0x0
	v_add_nc_u32_e32 v8, v9, v8
	s_or_b32 exec_lo, exec_lo, s21
	s_and_saveexec_b32 s21, s6
	s_cbranch_execz .LBB15_38
.LBB15_54:                              ;   in Loop: Header=BB15_31 Depth=1
	ds_load_b32 v9, v3 offset:16408
	s_wait_dscnt 0x0
	v_add_nc_u32_e32 v8, v9, v8
	s_or_b32 exec_lo, exec_lo, s21
	s_and_saveexec_b32 s21, s7
	s_cbranch_execz .LBB15_39
.LBB15_55:                              ;   in Loop: Header=BB15_31 Depth=1
	ds_load_b32 v9, v3 offset:16412
	s_wait_dscnt 0x0
	v_add_nc_u32_e32 v8, v9, v8
	s_or_b32 exec_lo, exec_lo, s21
	s_and_saveexec_b32 s21, s8
	s_cbranch_execz .LBB15_40
.LBB15_56:                              ;   in Loop: Header=BB15_31 Depth=1
	ds_load_b32 v9, v3 offset:16416
	s_wait_dscnt 0x0
	v_add_nc_u32_e32 v8, v9, v8
	s_or_b32 exec_lo, exec_lo, s21
	s_and_saveexec_b32 s21, s9
	s_cbranch_execz .LBB15_41
.LBB15_57:                              ;   in Loop: Header=BB15_31 Depth=1
	ds_load_b32 v9, v3 offset:16420
	s_wait_dscnt 0x0
	v_add_nc_u32_e32 v8, v9, v8
	s_or_b32 exec_lo, exec_lo, s21
	s_and_saveexec_b32 s21, s10
	s_cbranch_execz .LBB15_42
.LBB15_58:                              ;   in Loop: Header=BB15_31 Depth=1
	ds_load_b32 v9, v3 offset:16424
	s_wait_dscnt 0x0
	v_add_nc_u32_e32 v8, v9, v8
	s_or_b32 exec_lo, exec_lo, s21
	s_and_saveexec_b32 s21, s11
	s_cbranch_execz .LBB15_43
.LBB15_59:                              ;   in Loop: Header=BB15_31 Depth=1
	ds_load_b32 v9, v3 offset:16428
	s_wait_dscnt 0x0
	v_add_nc_u32_e32 v8, v9, v8
	s_or_b32 exec_lo, exec_lo, s21
	s_and_saveexec_b32 s21, s12
	s_cbranch_execz .LBB15_44
.LBB15_60:                              ;   in Loop: Header=BB15_31 Depth=1
	ds_load_b32 v9, v3 offset:16432
	s_wait_dscnt 0x0
	v_add_nc_u32_e32 v8, v9, v8
	s_or_b32 exec_lo, exec_lo, s21
	s_and_saveexec_b32 s21, s13
	s_cbranch_execz .LBB15_45
.LBB15_61:                              ;   in Loop: Header=BB15_31 Depth=1
	ds_load_b32 v9, v3 offset:16436
	s_wait_dscnt 0x0
	v_add_nc_u32_e32 v8, v9, v8
	s_or_b32 exec_lo, exec_lo, s21
	s_and_saveexec_b32 s21, s14
	s_cbranch_execz .LBB15_46
.LBB15_62:                              ;   in Loop: Header=BB15_31 Depth=1
	ds_load_b32 v9, v3 offset:16440
	s_wait_dscnt 0x0
	v_add_nc_u32_e32 v8, v9, v8
	s_or_b32 exec_lo, exec_lo, s21
	s_and_saveexec_b32 s21, s15
	s_cbranch_execz .LBB15_47
.LBB15_63:                              ;   in Loop: Header=BB15_31 Depth=1
	s_delay_alu instid0(VALU_DEP_1) | instskip(NEXT) | instid1(VALU_DEP_1)
	v_dual_lshlrev_b32 v9, 2, v6 :: v_dual_lshlrev_b32 v10, 2, v8
	v_add_nc_u32_e32 v9, 0, v9
	s_delay_alu instid0(VALU_DEP_1)
	v_add3_u32 v9, v9, v10, -4
	ds_store_b32 v9, v7
	s_or_b32 exec_lo, exec_lo, s21
	s_and_saveexec_b32 s15, vcc_lo
	s_cbranch_execz .LBB15_30
.LBB15_64:                              ;   in Loop: Header=BB15_31 Depth=1
	ds_store_b32 v3, v8 offset:16444
	s_branch .LBB15_30
.LBB15_65:
	s_or_b32 exec_lo, exec_lo, s19
	s_ashr_i32 s21, s20, 31
	s_delay_alu instid0(SALU_CYCLE_1)
	s_lshl_b64 s[0:1], s[20:21], 2
	s_wait_kmcnt 0x0
	s_add_nc_u64 s[2:3], s[22:23], s[0:1]
	s_load_b64 s[0:1], s[2:3], 0x0
	s_wait_kmcnt 0x0
	s_sub_co_i32 s4, s1, s0
	s_mov_b32 s1, exec_lo
	v_cmpx_gt_i32_e64 s4, v0
	s_cbranch_execz .LBB15_79
; %bb.66:
	v_sub_co_u32 v1, s1, s4, 2
	s_sub_co_i32 s2, s0, s18
	s_xor_b32 s6, s1, -1
	s_and_b32 s5, s4, -2
	v_readfirstlane_b32 s3, v1
	s_lshr_b32 s0, s3, 1
	s_mov_b32 s3, 0
	s_add_co_i32 s0, s0, 1
	s_mov_b32 s11, s3
	s_and_b32 s1, s0, 7
	s_and_b32 s7, s0, -8
	s_cmp_lg_u32 s1, 0
	v_cmp_lt_u32_e64 s0, 13, v1
	s_cselect_b32 s8, -1, 0
	s_cmp_lg_u32 s4, s5
	s_cselect_b32 s9, -1, 0
	s_lshl_b32 s10, s1, 3
	s_branch .LBB15_68
.LBB15_67:                              ;   in Loop: Header=BB15_68 Depth=1
	v_add_nc_u32_e32 v0, 0x400, v0
	s_wait_dscnt 0x0
	v_add_nc_u32_e32 v1, s18, v1
	s_delay_alu instid0(VALU_DEP_2)
	v_cmp_le_i32_e32 vcc_lo, s4, v0
	global_store_b32 v2, v1, s[16:17] scale_offset
	s_or_b32 s11, vcc_lo, s11
	s_wait_xcnt 0x0
	s_and_not1_b32 exec_lo, exec_lo, s11
	s_cbranch_execz .LBB15_79
.LBB15_68:                              ; =>This Loop Header: Depth=1
                                        ;     Child Loop BB15_71 Depth 2
                                        ;     Child Loop BB15_74 Depth 2
	;; [unrolled: 1-line block ×3, first 2 shown]
	v_lshl_add_u32 v1, v0, 2, 0
	v_mov_b32_e32 v2, s2
	s_and_not1_b32 vcc_lo, exec_lo, s6
	s_mov_b32 s1, 0
	s_mov_b32 s12, -1
	ds_load_b32 v1, v1
	s_cbranch_vccnz .LBB15_76
; %bb.69:                               ;   in Loop: Header=BB15_68 Depth=1
	v_mov_b64_e32 v[2:3], s[2:3]
	s_and_not1_b32 vcc_lo, exec_lo, s0
	s_mov_b32 s12, 0
	s_cbranch_vccnz .LBB15_72
; %bb.70:                               ;   in Loop: Header=BB15_68 Depth=1
	v_dual_mov_b32 v2, s2 :: v_dual_mov_b32 v3, 0
	s_mov_b32 s13, 0
	s_mov_b32 s14, s7
.LBB15_71:                              ;   Parent Loop BB15_68 Depth=1
                                        ; =>  This Inner Loop Header: Depth=2
	v_mov_b32_e32 v18, s13
	s_add_co_i32 s14, s14, -8
	s_add_co_i32 s12, s12, 16
	s_add_co_i32 s13, s13, 64
	s_cmp_lg_u32 s14, 0
	ds_load_2addr_b32 v[4:5], v18 offset1:1
	ds_load_2addr_b32 v[6:7], v18 offset0:2 offset1:3
	ds_load_2addr_b32 v[8:9], v18 offset0:4 offset1:5
	;; [unrolled: 1-line block ×7, first 2 shown]
	s_wait_dscnt 0x7
	v_cmp_gt_i32_e32 vcc_lo, v1, v5
	s_wait_dscnt 0x5
	v_cmp_gt_i32_e64 s1, v1, v8
	v_cndmask_b32_e64 v5, 0, 1, vcc_lo
	v_cmp_gt_i32_e32 vcc_lo, v1, v4
	v_cndmask_b32_e64 v4, 0, 1, vcc_lo
	v_cmp_gt_i32_e32 vcc_lo, v1, v6
	v_cndmask_b32_e64 v6, 0, 1, s1
	v_cmp_gt_i32_e64 s1, v1, v9
	s_delay_alu instid0(VALU_DEP_4) | instskip(NEXT) | instid1(VALU_DEP_2)
	v_add_co_ci_u32_e64 v2, null, v2, v4, vcc_lo
	v_cndmask_b32_e64 v8, 0, 1, s1
	s_wait_dscnt 0x4
	v_cmp_gt_i32_e64 s1, v1, v11
	s_wait_dscnt 0x2
	v_cmp_gt_i32_e32 vcc_lo, v1, v14
	s_delay_alu instid0(VALU_DEP_2) | instskip(SKIP_4) | instid1(VALU_DEP_3)
	v_cndmask_b32_e64 v9, 0, 1, s1
	v_cmp_gt_i32_e64 s1, v1, v10
	v_add_co_ci_u32_e64 v2, null, v2, v6, vcc_lo
	s_wait_dscnt 0x1
	v_cmp_gt_i32_e32 vcc_lo, v1, v16
	v_cndmask_b32_e64 v10, 0, 1, s1
	v_cmp_gt_i32_e64 s1, v1, v12
	s_delay_alu instid0(VALU_DEP_2) | instskip(NEXT) | instid1(VALU_DEP_2)
	v_add_co_ci_u32_e64 v2, null, v2, v10, vcc_lo
	v_cndmask_b32_e64 v11, 0, 1, s1
	v_cmp_gt_i32_e64 s1, v1, v13
	s_wait_dscnt 0x0
	v_cmp_gt_i32_e32 vcc_lo, v1, v18
	s_delay_alu instid0(VALU_DEP_2) | instskip(SKIP_2) | instid1(VALU_DEP_2)
	v_cndmask_b32_e64 v12, 0, 1, s1
	v_cmp_gt_i32_e64 s1, v1, v7
	v_add_co_ci_u32_e64 v2, null, v2, v11, vcc_lo
	v_add_co_ci_u32_e64 v3, null, v3, v5, s1
	v_cmp_gt_i32_e64 s1, v1, v15
	s_delay_alu instid0(VALU_DEP_1) | instskip(SKIP_1) | instid1(VALU_DEP_1)
	v_add_co_ci_u32_e64 v3, null, v3, v8, s1
	v_cmp_gt_i32_e64 s1, v1, v17
	v_add_co_ci_u32_e64 v3, null, v3, v9, s1
	v_cmp_gt_i32_e64 s1, v1, v19
	s_delay_alu instid0(VALU_DEP_1)
	v_add_co_ci_u32_e64 v3, null, v3, v12, s1
	s_cbranch_scc1 .LBB15_71
.LBB15_72:                              ;   in Loop: Header=BB15_68 Depth=1
	s_and_not1_b32 vcc_lo, exec_lo, s8
	s_cbranch_vccnz .LBB15_75
; %bb.73:                               ;   in Loop: Header=BB15_68 Depth=1
	s_lshl_b32 s1, s12, 2
	s_mov_b32 s12, s10
	s_add_co_i32 s1, s1, 0
.LBB15_74:                              ;   Parent Loop BB15_68 Depth=1
                                        ; =>  This Inner Loop Header: Depth=2
	s_delay_alu instid0(SALU_CYCLE_1)
	v_mov_b32_e32 v4, s1
	s_add_co_i32 s12, s12, -8
	s_add_co_i32 s1, s1, 8
	s_cmp_lg_u32 s12, 0
	ds_load_2addr_b32 v[4:5], v4 offset1:1
	s_wait_dscnt 0x0
	v_cmp_gt_i32_e32 vcc_lo, v1, v5
	v_add_co_ci_u32_e64 v3, null, 0, v3, vcc_lo
	v_cmp_gt_i32_e32 vcc_lo, v1, v4
	v_add_co_ci_u32_e64 v2, null, 0, v2, vcc_lo
	s_cbranch_scc1 .LBB15_74
.LBB15_75:                              ;   in Loop: Header=BB15_68 Depth=1
	s_delay_alu instid0(VALU_DEP_1)
	v_add_nc_u32_e32 v2, v2, v3
	s_mov_b32 s1, s5
	s_mov_b32 s12, s9
.LBB15_76:                              ;   in Loop: Header=BB15_68 Depth=1
	s_delay_alu instid0(SALU_CYCLE_1)
	s_and_b32 vcc_lo, exec_lo, s12
	s_cbranch_vccz .LBB15_67
; %bb.77:                               ;   in Loop: Header=BB15_68 Depth=1
	s_lshl_b32 s12, s1, 2
	s_delay_alu instid0(SALU_CYCLE_1)
	s_add_co_i32 s12, s12, 0
.LBB15_78:                              ;   Parent Loop BB15_68 Depth=1
                                        ; =>  This Inner Loop Header: Depth=2
	s_delay_alu instid0(SALU_CYCLE_1)
	v_mov_b32_e32 v3, s12
	s_add_co_i32 s1, s1, 1
	s_add_co_i32 s12, s12, 4
	s_cmp_ge_i32 s1, s4
	ds_load_b32 v3, v3
	s_wait_dscnt 0x0
	v_cmp_gt_i32_e32 vcc_lo, v1, v3
	v_add_co_ci_u32_e64 v2, null, 0, v2, vcc_lo
	s_cbranch_scc0 .LBB15_78
	s_branch .LBB15_67
.LBB15_79:
	s_endpgm
	.section	.rodata,"a",@progbits
	.p2align	6, 0x0
	.amdhsa_kernel _ZN9rocsparseL35csrgemm_symbolic_fill_block_per_rowILj1024ELj64ELj4096ELj137ELj64EiiEEvT5_PKS1_S3_PKT4_S3_S6_S3_S6_S3_S6_PS1_21rocsparse_index_base_S8_S8_S8_bb
		.amdhsa_group_segment_fixed_size 0
		.amdhsa_private_segment_fixed_size 0
		.amdhsa_kernarg_size 108
		.amdhsa_user_sgpr_count 2
		.amdhsa_user_sgpr_dispatch_ptr 0
		.amdhsa_user_sgpr_queue_ptr 0
		.amdhsa_user_sgpr_kernarg_segment_ptr 1
		.amdhsa_user_sgpr_dispatch_id 0
		.amdhsa_user_sgpr_kernarg_preload_length 0
		.amdhsa_user_sgpr_kernarg_preload_offset 0
		.amdhsa_user_sgpr_private_segment_size 0
		.amdhsa_wavefront_size32 1
		.amdhsa_uses_dynamic_stack 0
		.amdhsa_enable_private_segment 0
		.amdhsa_system_sgpr_workgroup_id_x 1
		.amdhsa_system_sgpr_workgroup_id_y 0
		.amdhsa_system_sgpr_workgroup_id_z 0
		.amdhsa_system_sgpr_workgroup_info 0
		.amdhsa_system_vgpr_workitem_id 0
		.amdhsa_next_free_vgpr 20
		.amdhsa_next_free_sgpr 25
		.amdhsa_named_barrier_count 0
		.amdhsa_reserve_vcc 1
		.amdhsa_float_round_mode_32 0
		.amdhsa_float_round_mode_16_64 0
		.amdhsa_float_denorm_mode_32 3
		.amdhsa_float_denorm_mode_16_64 3
		.amdhsa_fp16_overflow 0
		.amdhsa_memory_ordered 1
		.amdhsa_forward_progress 1
		.amdhsa_inst_pref_size 23
		.amdhsa_round_robin_scheduling 0
		.amdhsa_exception_fp_ieee_invalid_op 0
		.amdhsa_exception_fp_denorm_src 0
		.amdhsa_exception_fp_ieee_div_zero 0
		.amdhsa_exception_fp_ieee_overflow 0
		.amdhsa_exception_fp_ieee_underflow 0
		.amdhsa_exception_fp_ieee_inexact 0
		.amdhsa_exception_int_div_zero 0
	.end_amdhsa_kernel
	.section	.text._ZN9rocsparseL35csrgemm_symbolic_fill_block_per_rowILj1024ELj64ELj4096ELj137ELj64EiiEEvT5_PKS1_S3_PKT4_S3_S6_S3_S6_S3_S6_PS1_21rocsparse_index_base_S8_S8_S8_bb,"axG",@progbits,_ZN9rocsparseL35csrgemm_symbolic_fill_block_per_rowILj1024ELj64ELj4096ELj137ELj64EiiEEvT5_PKS1_S3_PKT4_S3_S6_S3_S6_S3_S6_PS1_21rocsparse_index_base_S8_S8_S8_bb,comdat
.Lfunc_end15:
	.size	_ZN9rocsparseL35csrgemm_symbolic_fill_block_per_rowILj1024ELj64ELj4096ELj137ELj64EiiEEvT5_PKS1_S3_PKT4_S3_S6_S3_S6_S3_S6_PS1_21rocsparse_index_base_S8_S8_S8_bb, .Lfunc_end15-_ZN9rocsparseL35csrgemm_symbolic_fill_block_per_rowILj1024ELj64ELj4096ELj137ELj64EiiEEvT5_PKS1_S3_PKT4_S3_S6_S3_S6_S3_S6_PS1_21rocsparse_index_base_S8_S8_S8_bb
                                        ; -- End function
	.set _ZN9rocsparseL35csrgemm_symbolic_fill_block_per_rowILj1024ELj64ELj4096ELj137ELj64EiiEEvT5_PKS1_S3_PKT4_S3_S6_S3_S6_S3_S6_PS1_21rocsparse_index_base_S8_S8_S8_bb.num_vgpr, 20
	.set _ZN9rocsparseL35csrgemm_symbolic_fill_block_per_rowILj1024ELj64ELj4096ELj137ELj64EiiEEvT5_PKS1_S3_PKT4_S3_S6_S3_S6_S3_S6_PS1_21rocsparse_index_base_S8_S8_S8_bb.num_agpr, 0
	.set _ZN9rocsparseL35csrgemm_symbolic_fill_block_per_rowILj1024ELj64ELj4096ELj137ELj64EiiEEvT5_PKS1_S3_PKT4_S3_S6_S3_S6_S3_S6_PS1_21rocsparse_index_base_S8_S8_S8_bb.numbered_sgpr, 25
	.set _ZN9rocsparseL35csrgemm_symbolic_fill_block_per_rowILj1024ELj64ELj4096ELj137ELj64EiiEEvT5_PKS1_S3_PKT4_S3_S6_S3_S6_S3_S6_PS1_21rocsparse_index_base_S8_S8_S8_bb.num_named_barrier, 0
	.set _ZN9rocsparseL35csrgemm_symbolic_fill_block_per_rowILj1024ELj64ELj4096ELj137ELj64EiiEEvT5_PKS1_S3_PKT4_S3_S6_S3_S6_S3_S6_PS1_21rocsparse_index_base_S8_S8_S8_bb.private_seg_size, 0
	.set _ZN9rocsparseL35csrgemm_symbolic_fill_block_per_rowILj1024ELj64ELj4096ELj137ELj64EiiEEvT5_PKS1_S3_PKT4_S3_S6_S3_S6_S3_S6_PS1_21rocsparse_index_base_S8_S8_S8_bb.uses_vcc, 1
	.set _ZN9rocsparseL35csrgemm_symbolic_fill_block_per_rowILj1024ELj64ELj4096ELj137ELj64EiiEEvT5_PKS1_S3_PKT4_S3_S6_S3_S6_S3_S6_PS1_21rocsparse_index_base_S8_S8_S8_bb.uses_flat_scratch, 0
	.set _ZN9rocsparseL35csrgemm_symbolic_fill_block_per_rowILj1024ELj64ELj4096ELj137ELj64EiiEEvT5_PKS1_S3_PKT4_S3_S6_S3_S6_S3_S6_PS1_21rocsparse_index_base_S8_S8_S8_bb.has_dyn_sized_stack, 0
	.set _ZN9rocsparseL35csrgemm_symbolic_fill_block_per_rowILj1024ELj64ELj4096ELj137ELj64EiiEEvT5_PKS1_S3_PKT4_S3_S6_S3_S6_S3_S6_PS1_21rocsparse_index_base_S8_S8_S8_bb.has_recursion, 0
	.set _ZN9rocsparseL35csrgemm_symbolic_fill_block_per_rowILj1024ELj64ELj4096ELj137ELj64EiiEEvT5_PKS1_S3_PKT4_S3_S6_S3_S6_S3_S6_PS1_21rocsparse_index_base_S8_S8_S8_bb.has_indirect_call, 0
	.section	.AMDGPU.csdata,"",@progbits
; Kernel info:
; codeLenInByte = 2936
; TotalNumSgprs: 27
; NumVgprs: 20
; ScratchSize: 0
; MemoryBound: 0
; FloatMode: 240
; IeeeMode: 1
; LDSByteSize: 0 bytes/workgroup (compile time only)
; SGPRBlocks: 0
; VGPRBlocks: 1
; NumSGPRsForWavesPerEU: 27
; NumVGPRsForWavesPerEU: 20
; NamedBarCnt: 0
; Occupancy: 16
; WaveLimiterHint : 1
; COMPUTE_PGM_RSRC2:SCRATCH_EN: 0
; COMPUTE_PGM_RSRC2:USER_SGPR: 2
; COMPUTE_PGM_RSRC2:TRAP_HANDLER: 0
; COMPUTE_PGM_RSRC2:TGID_X_EN: 1
; COMPUTE_PGM_RSRC2:TGID_Y_EN: 0
; COMPUTE_PGM_RSRC2:TGID_Z_EN: 0
; COMPUTE_PGM_RSRC2:TIDIG_COMP_CNT: 0
	.section	.text._ZN9rocsparseL35csrgemm_symbolic_fill_block_per_rowILj1024ELj64ELj8192ELj137ELj32EiiEEvT5_PKS1_S3_PKT4_S3_S6_S3_S6_S3_S6_PS1_21rocsparse_index_base_S8_S8_S8_bb,"axG",@progbits,_ZN9rocsparseL35csrgemm_symbolic_fill_block_per_rowILj1024ELj64ELj8192ELj137ELj32EiiEEvT5_PKS1_S3_PKT4_S3_S6_S3_S6_S3_S6_PS1_21rocsparse_index_base_S8_S8_S8_bb,comdat
	.globl	_ZN9rocsparseL35csrgemm_symbolic_fill_block_per_rowILj1024ELj64ELj8192ELj137ELj32EiiEEvT5_PKS1_S3_PKT4_S3_S6_S3_S6_S3_S6_PS1_21rocsparse_index_base_S8_S8_S8_bb ; -- Begin function _ZN9rocsparseL35csrgemm_symbolic_fill_block_per_rowILj1024ELj64ELj8192ELj137ELj32EiiEEvT5_PKS1_S3_PKT4_S3_S6_S3_S6_S3_S6_PS1_21rocsparse_index_base_S8_S8_S8_bb
	.p2align	8
	.type	_ZN9rocsparseL35csrgemm_symbolic_fill_block_per_rowILj1024ELj64ELj8192ELj137ELj32EiiEEvT5_PKS1_S3_PKT4_S3_S6_S3_S6_S3_S6_PS1_21rocsparse_index_base_S8_S8_S8_bb,@function
_ZN9rocsparseL35csrgemm_symbolic_fill_block_per_rowILj1024ELj64ELj8192ELj137ELj32EiiEEvT5_PKS1_S3_PKT4_S3_S6_S3_S6_S3_S6_PS1_21rocsparse_index_base_S8_S8_S8_bb: ; @_ZN9rocsparseL35csrgemm_symbolic_fill_block_per_rowILj1024ELj64ELj8192ELj137ELj32EiiEEvT5_PKS1_S3_PKT4_S3_S6_S3_S6_S3_S6_PS1_21rocsparse_index_base_S8_S8_S8_bb
; %bb.0:
	s_clause 0x1
	s_load_b32 s33, s[0:1], 0x0
	s_load_b128 s[4:7], s[0:1], 0x8
	v_lshl_add_u32 v1, v0, 2, 0
	s_bfe_u32 s3, ttmp6, 0x4000c
	s_load_b32 s8, s[0:1], 0x68
	s_add_co_i32 s3, s3, 1
	s_delay_alu instid0(SALU_CYCLE_1)
	s_mul_i32 s3, ttmp9, s3
	s_wait_kmcnt 0x0
	v_dual_mov_b32 v2, s33 :: v_dual_mov_b32 v3, s33
	v_dual_mov_b32 v4, s33 :: v_dual_mov_b32 v5, s33
	;; [unrolled: 1-line block ×4, first 2 shown]
	ds_store_2addr_stride64_b32 v1, v2, v3 offset1:16
	ds_store_2addr_stride64_b32 v1, v4, v5 offset0:32 offset1:48
	ds_store_2addr_stride64_b32 v1, v6, v7 offset0:64 offset1:80
	;; [unrolled: 1-line block ×3, first 2 shown]
	s_wait_dscnt 0x0
	s_barrier_signal -1
	s_barrier_wait -1
	s_load_b32 s2, s[4:5], 0x0
	s_wait_xcnt 0x0
	s_and_b32 s4, ttmp6, 15
	s_getreg_b32 s5, hwreg(HW_REG_IB_STS2, 6, 4)
	s_add_co_i32 s4, s4, s3
	s_cmp_eq_u32 s5, 0
	s_cselect_b32 s3, ttmp9, s4
	s_wait_kmcnt 0x0
	s_add_co_i32 s2, s2, s3
	s_load_b128 s[36:39], s[0:1], 0x58
	s_load_b32 s40, s[6:7], s2 offset:0x0 scale_offset
	s_bitcmp0_b32 s8, 0
	s_cbranch_scc1 .LBB16_16
; %bb.1:
	s_wait_xcnt 0x0
	s_load_b64 s[2:3], s[0:1], 0x18
	s_wait_kmcnt 0x0
	s_ashr_i32 s41, s40, 31
	v_lshrrev_b32_e32 v2, 6, v0
	s_lshl_b64 s[4:5], s[40:41], 2
	s_mov_b32 s10, exec_lo
	s_delay_alu instid0(VALU_DEP_1) | instskip(SKIP_3) | instid1(VALU_DEP_1)
	v_subrev_nc_u32_e32 v2, s36, v2
	s_add_nc_u64 s[2:3], s[2:3], s[4:5]
	s_load_b64 s[4:5], s[2:3], 0x0
	s_wait_kmcnt 0x0
	v_add_nc_u32_e32 v2, s4, v2
	s_sub_co_i32 s9, s5, s36
	s_delay_alu instid0(VALU_DEP_1) | instid1(SALU_CYCLE_1)
	v_cmpx_gt_i32_e64 s9, v2
	s_cbranch_execz .LBB16_15
; %bb.2:
	s_clause 0x1
	s_load_b128 s[4:7], s[0:1], 0x20
	s_load_b64 s[2:3], s[0:1], 0x30
	v_and_b32_e32 v3, 63, v0
	s_mov_b32 s11, 0
	s_delay_alu instid0(VALU_DEP_1)
	v_subrev_nc_u32_e32 v3, s37, v3
	s_branch .LBB16_4
.LBB16_3:                               ;   in Loop: Header=BB16_4 Depth=1
	s_or_b32 exec_lo, exec_lo, s12
	v_add_nc_u32_e32 v2, 16, v2
	s_delay_alu instid0(VALU_DEP_1) | instskip(SKIP_1) | instid1(SALU_CYCLE_1)
	v_cmp_le_i32_e32 vcc_lo, s9, v2
	s_or_b32 s11, vcc_lo, s11
	s_and_not1_b32 exec_lo, exec_lo, s11
	s_cbranch_execz .LBB16_15
.LBB16_4:                               ; =>This Loop Header: Depth=1
                                        ;     Child Loop BB16_7 Depth 2
                                        ;       Child Loop BB16_10 Depth 3
	s_wait_kmcnt 0x0
	global_load_b32 v4, v2, s[4:5] scale_offset
	s_mov_b32 s12, exec_lo
	s_wait_loadcnt 0x0
	v_subrev_nc_u32_e32 v4, s36, v4
	s_delay_alu instid0(VALU_DEP_1) | instskip(NEXT) | instid1(VALU_DEP_1)
	v_ashrrev_i32_e32 v5, 31, v4
	v_lshl_add_u64 v[4:5], v[4:5], 2, s[6:7]
	global_load_b64 v[6:7], v[4:5], off
	s_wait_loadcnt 0x0
	v_subrev_nc_u32_e32 v4, s37, v7
	v_add_nc_u32_e32 v5, v6, v3
	s_delay_alu instid0(VALU_DEP_1)
	v_cmpx_lt_i32_e64 v5, v4
	s_cbranch_execz .LBB16_3
; %bb.5:                                ;   in Loop: Header=BB16_4 Depth=1
	s_mov_b32 s13, 0
	s_branch .LBB16_7
.LBB16_6:                               ;   in Loop: Header=BB16_7 Depth=2
	s_or_b32 exec_lo, exec_lo, s14
	v_add_nc_u32_e32 v5, 64, v5
	s_delay_alu instid0(VALU_DEP_1) | instskip(SKIP_1) | instid1(SALU_CYCLE_1)
	v_cmp_ge_i32_e32 vcc_lo, v5, v4
	s_or_b32 s13, vcc_lo, s13
	s_and_not1_b32 exec_lo, exec_lo, s13
	s_cbranch_execz .LBB16_3
.LBB16_7:                               ;   Parent Loop BB16_4 Depth=1
                                        ; =>  This Loop Header: Depth=2
                                        ;       Child Loop BB16_10 Depth 3
	global_load_b32 v6, v5, s[2:3] scale_offset
	s_mov_b32 s14, 0
                                        ; implicit-def: $sgpr15
	s_wait_loadcnt 0x0
	v_subrev_nc_u32_e32 v6, s37, v6
	s_delay_alu instid0(VALU_DEP_1) | instskip(NEXT) | instid1(VALU_DEP_1)
	v_mul_lo_u32 v7, 0x89, v6
	v_and_b32_e32 v7, 0x1fff, v7
	s_branch .LBB16_10
.LBB16_8:                               ;   in Loop: Header=BB16_10 Depth=3
	s_or_b32 exec_lo, exec_lo, s17
	s_delay_alu instid0(SALU_CYCLE_1) | instskip(SKIP_1) | instid1(SALU_CYCLE_1)
	s_and_not1_b32 s15, s15, exec_lo
	s_and_b32 s17, s18, exec_lo
	s_or_b32 s15, s15, s17
.LBB16_9:                               ;   in Loop: Header=BB16_10 Depth=3
	s_or_b32 exec_lo, exec_lo, s16
	s_xor_b32 s16, s15, -1
	s_delay_alu instid0(SALU_CYCLE_1) | instskip(NEXT) | instid1(SALU_CYCLE_1)
	s_and_b32 s16, exec_lo, s16
	s_or_b32 s14, s16, s14
	s_delay_alu instid0(SALU_CYCLE_1)
	s_and_not1_b32 exec_lo, exec_lo, s14
	s_cbranch_execz .LBB16_6
.LBB16_10:                              ;   Parent Loop BB16_4 Depth=1
                                        ;     Parent Loop BB16_7 Depth=2
                                        ; =>    This Inner Loop Header: Depth=3
	s_delay_alu instid0(VALU_DEP_1)
	v_lshl_add_u32 v8, v7, 2, 0
	s_and_not1_b32 s15, s15, exec_lo
	s_mov_b32 s16, exec_lo
	ds_load_b32 v9, v8
	s_wait_dscnt 0x0
	v_cmpx_ne_u32_e64 v9, v6
	s_cbranch_execz .LBB16_9
; %bb.11:                               ;   in Loop: Header=BB16_10 Depth=3
	s_mov_b32 s17, exec_lo
	v_cmpx_ne_u32_e64 s33, v9
	s_xor_b32 s17, exec_lo, s17
; %bb.12:                               ;   in Loop: Header=BB16_10 Depth=3
	v_add_nc_u32_e32 v7, 1, v7
                                        ; implicit-def: $vgpr8
	s_delay_alu instid0(VALU_DEP_1)
	v_and_b32_e32 v7, 0x1fff, v7
; %bb.13:                               ;   in Loop: Header=BB16_10 Depth=3
	s_or_saveexec_b32 s17, s17
	s_mov_b32 s18, -1
	s_xor_b32 exec_lo, exec_lo, s17
	s_cbranch_execz .LBB16_8
; %bb.14:                               ;   in Loop: Header=BB16_10 Depth=3
	v_mov_b32_e32 v9, s33
	ds_cmpstore_rtn_b32 v8, v8, v6, v9
	s_wait_dscnt 0x0
	v_cmp_ne_u32_e32 vcc_lo, s33, v8
	s_or_not1_b32 s18, vcc_lo, exec_lo
	s_branch .LBB16_8
.LBB16_15:
	s_or_b32 exec_lo, exec_lo, s10
.LBB16_16:
	s_load_b64 s[34:35], s[0:1], 0x50
	s_wait_xcnt 0x0
	s_bfe_u32 s2, s8, 0x10008
	s_delay_alu instid0(SALU_CYCLE_1)
	s_cmp_eq_u32 s2, 0
	s_cbranch_scc1 .LBB16_29
; %bb.17:
	s_load_b64 s[2:3], s[0:1], 0x38
	s_wait_kmcnt 0x0
	s_ashr_i32 s41, s40, 31
	v_subrev_nc_u32_e32 v2, s39, v0
	s_lshl_b64 s[4:5], s[40:41], 2
	s_delay_alu instid0(SALU_CYCLE_1)
	s_add_nc_u64 s[2:3], s[2:3], s[4:5]
	s_load_b64 s[4:5], s[2:3], 0x0
	s_wait_kmcnt 0x0
	v_add_nc_u32_e32 v2, s4, v2
	s_sub_co_i32 s4, s5, s39
	s_mov_b32 s5, exec_lo
	s_delay_alu instid0(VALU_DEP_1)
	v_cmpx_gt_i32_e64 s4, v2
	s_cbranch_execz .LBB16_28
; %bb.18:
	s_load_b64 s[2:3], s[0:1], 0x40
	s_mov_b32 s6, 0
	s_branch .LBB16_20
.LBB16_19:                              ;   in Loop: Header=BB16_20 Depth=1
	s_or_b32 exec_lo, exec_lo, s7
	v_add_nc_u32_e32 v2, 0x400, v2
	s_delay_alu instid0(VALU_DEP_1) | instskip(SKIP_1) | instid1(SALU_CYCLE_1)
	v_cmp_le_i32_e32 vcc_lo, s4, v2
	s_or_b32 s6, vcc_lo, s6
	s_and_not1_b32 exec_lo, exec_lo, s6
	s_cbranch_execz .LBB16_28
.LBB16_20:                              ; =>This Loop Header: Depth=1
                                        ;     Child Loop BB16_23 Depth 2
	s_wait_kmcnt 0x0
	global_load_b32 v3, v2, s[2:3] scale_offset
	s_mov_b32 s7, 0
                                        ; implicit-def: $sgpr8
	s_wait_loadcnt 0x0
	v_subrev_nc_u32_e32 v3, s39, v3
	s_delay_alu instid0(VALU_DEP_1) | instskip(NEXT) | instid1(VALU_DEP_1)
	v_mul_lo_u32 v4, 0x89, v3
	v_and_b32_e32 v4, 0x1fff, v4
	s_branch .LBB16_23
.LBB16_21:                              ;   in Loop: Header=BB16_23 Depth=2
	s_or_b32 exec_lo, exec_lo, s10
	s_delay_alu instid0(SALU_CYCLE_1) | instskip(SKIP_1) | instid1(SALU_CYCLE_1)
	s_and_not1_b32 s8, s8, exec_lo
	s_and_b32 s10, s11, exec_lo
	s_or_b32 s8, s8, s10
.LBB16_22:                              ;   in Loop: Header=BB16_23 Depth=2
	s_or_b32 exec_lo, exec_lo, s9
	s_xor_b32 s9, s8, -1
	s_delay_alu instid0(SALU_CYCLE_1) | instskip(NEXT) | instid1(SALU_CYCLE_1)
	s_and_b32 s9, exec_lo, s9
	s_or_b32 s7, s9, s7
	s_delay_alu instid0(SALU_CYCLE_1)
	s_and_not1_b32 exec_lo, exec_lo, s7
	s_cbranch_execz .LBB16_19
.LBB16_23:                              ;   Parent Loop BB16_20 Depth=1
                                        ; =>  This Inner Loop Header: Depth=2
	s_delay_alu instid0(VALU_DEP_1)
	v_lshl_add_u32 v5, v4, 2, 0
	s_and_not1_b32 s8, s8, exec_lo
	s_mov_b32 s9, exec_lo
	ds_load_b32 v6, v5
	s_wait_dscnt 0x0
	v_cmpx_ne_u32_e64 v6, v3
	s_cbranch_execz .LBB16_22
; %bb.24:                               ;   in Loop: Header=BB16_23 Depth=2
	s_mov_b32 s10, exec_lo
	v_cmpx_ne_u32_e64 s33, v6
	s_xor_b32 s10, exec_lo, s10
; %bb.25:                               ;   in Loop: Header=BB16_23 Depth=2
	v_add_nc_u32_e32 v4, 1, v4
                                        ; implicit-def: $vgpr5
	s_delay_alu instid0(VALU_DEP_1)
	v_and_b32_e32 v4, 0x1fff, v4
; %bb.26:                               ;   in Loop: Header=BB16_23 Depth=2
	s_or_saveexec_b32 s10, s10
	s_mov_b32 s11, -1
	s_xor_b32 exec_lo, exec_lo, s10
	s_cbranch_execz .LBB16_21
; %bb.27:                               ;   in Loop: Header=BB16_23 Depth=2
	v_mov_b32_e32 v6, s33
	ds_cmpstore_rtn_b32 v5, v5, v3, v6
	s_wait_dscnt 0x0
	v_cmp_ne_u32_e32 vcc_lo, s33, v5
	s_or_not1_b32 s11, vcc_lo, exec_lo
	s_branch .LBB16_21
.LBB16_28:
	s_or_b32 exec_lo, exec_lo, s5
.LBB16_29:
	s_wait_kmcnt 0x0
	s_load_b64 s[36:37], s[0:1], 0x48
	v_mbcnt_lo_u32_b32 v2, -1, 0
	v_lshrrev_b32_e32 v3, 3, v0
	s_wait_xcnt 0x0
	v_cmp_lt_u32_e64 s0, 31, v0
	v_cmp_lt_u32_e64 s1, 63, v0
	;; [unrolled: 1-line block ×3, first 2 shown]
	v_xor_b32_e32 v2, 31, v2
	v_and_b32_e32 v4, 0x7c, v3
	v_mov_b32_e32 v3, 0
	v_cmp_lt_u32_e64 s3, 0x7f, v0
	v_cmp_lt_u32_e64 s4, 0x9f, v0
	v_lshrrev_b32_e64 v2, v2, -1
	v_add_nc_u32_e32 v4, 0, v4
	v_cmp_lt_u32_e64 s5, 0xbf, v0
	v_cmp_lt_u32_e64 s6, 0xdf, v0
	;; [unrolled: 1-line block ×26, first 2 shown]
	v_or_b32_e32 v5, 0xfffffc00, v0
	v_mov_b32_e32 v6, 0
	s_mov_b32 s39, 0
	v_cmp_eq_u32_e32 vcc_lo, 0x3ff, v0
	s_barrier_signal -1
	s_barrier_wait -1
	s_branch .LBB16_31
.LBB16_30:                              ;   in Loop: Header=BB16_31 Depth=1
	s_or_b32 exec_lo, exec_lo, s31
	s_wait_dscnt 0x0
	s_barrier_signal -1
	s_barrier_wait -1
	ds_load_b32 v7, v3 offset:32892
	v_add_nc_u32_e32 v5, 0x400, v5
	v_add_nc_u32_e32 v1, 0x1000, v1
	s_delay_alu instid0(VALU_DEP_2)
	v_cmp_lt_u32_e64 s31, 0x1bff, v5
	s_or_b32 s39, s31, s39
	s_wait_dscnt 0x0
	v_add_nc_u32_e32 v6, v7, v6
	s_and_not1_b32 exec_lo, exec_lo, s39
	s_cbranch_execz .LBB16_97
.LBB16_31:                              ; =>This Inner Loop Header: Depth=1
	ds_load_b32 v7, v1
	s_wait_dscnt 0x0
	s_barrier_signal -1
	s_barrier_wait -1
	v_cmp_gt_i32_e64 s31, s33, v7
	s_bcnt1_i32_b32 s41, s31
	s_delay_alu instid0(SALU_CYCLE_1) | instskip(NEXT) | instid1(VALU_DEP_1)
	v_dual_mov_b32 v9, s41 :: v_dual_bitop2_b32 v8, s31, v2 bitop3:0x40
	v_bcnt_u32_b32 v8, v8, 0
	ds_store_b32 v4, v9 offset:32768
	s_wait_dscnt 0x0
	s_barrier_signal -1
	s_barrier_wait -1
	s_and_saveexec_b32 s41, s0
	s_cbranch_execnz .LBB16_64
; %bb.32:                               ;   in Loop: Header=BB16_31 Depth=1
	s_or_b32 exec_lo, exec_lo, s41
	s_and_saveexec_b32 s41, s1
	s_cbranch_execnz .LBB16_65
.LBB16_33:                              ;   in Loop: Header=BB16_31 Depth=1
	s_or_b32 exec_lo, exec_lo, s41
	s_and_saveexec_b32 s41, s2
	s_cbranch_execnz .LBB16_66
.LBB16_34:                              ;   in Loop: Header=BB16_31 Depth=1
	s_or_b32 exec_lo, exec_lo, s41
	s_and_saveexec_b32 s41, s3
	s_cbranch_execnz .LBB16_67
.LBB16_35:                              ;   in Loop: Header=BB16_31 Depth=1
	s_or_b32 exec_lo, exec_lo, s41
	s_and_saveexec_b32 s41, s4
	s_cbranch_execnz .LBB16_68
.LBB16_36:                              ;   in Loop: Header=BB16_31 Depth=1
	s_or_b32 exec_lo, exec_lo, s41
	s_and_saveexec_b32 s41, s5
	s_cbranch_execnz .LBB16_69
.LBB16_37:                              ;   in Loop: Header=BB16_31 Depth=1
	s_or_b32 exec_lo, exec_lo, s41
	s_and_saveexec_b32 s41, s6
	s_cbranch_execnz .LBB16_70
.LBB16_38:                              ;   in Loop: Header=BB16_31 Depth=1
	s_or_b32 exec_lo, exec_lo, s41
	s_and_saveexec_b32 s41, s7
	s_cbranch_execnz .LBB16_71
.LBB16_39:                              ;   in Loop: Header=BB16_31 Depth=1
	s_or_b32 exec_lo, exec_lo, s41
	s_and_saveexec_b32 s41, s8
	s_cbranch_execnz .LBB16_72
.LBB16_40:                              ;   in Loop: Header=BB16_31 Depth=1
	s_or_b32 exec_lo, exec_lo, s41
	s_and_saveexec_b32 s41, s9
	s_cbranch_execnz .LBB16_73
.LBB16_41:                              ;   in Loop: Header=BB16_31 Depth=1
	s_or_b32 exec_lo, exec_lo, s41
	s_and_saveexec_b32 s41, s10
	s_cbranch_execnz .LBB16_74
.LBB16_42:                              ;   in Loop: Header=BB16_31 Depth=1
	s_or_b32 exec_lo, exec_lo, s41
	s_and_saveexec_b32 s41, s11
	s_cbranch_execnz .LBB16_75
.LBB16_43:                              ;   in Loop: Header=BB16_31 Depth=1
	s_or_b32 exec_lo, exec_lo, s41
	s_and_saveexec_b32 s41, s12
	s_cbranch_execnz .LBB16_76
.LBB16_44:                              ;   in Loop: Header=BB16_31 Depth=1
	s_or_b32 exec_lo, exec_lo, s41
	s_and_saveexec_b32 s41, s13
	s_cbranch_execnz .LBB16_77
.LBB16_45:                              ;   in Loop: Header=BB16_31 Depth=1
	s_or_b32 exec_lo, exec_lo, s41
	s_and_saveexec_b32 s41, s14
	s_cbranch_execnz .LBB16_78
.LBB16_46:                              ;   in Loop: Header=BB16_31 Depth=1
	s_or_b32 exec_lo, exec_lo, s41
	s_and_saveexec_b32 s41, s15
	s_cbranch_execnz .LBB16_79
.LBB16_47:                              ;   in Loop: Header=BB16_31 Depth=1
	s_or_b32 exec_lo, exec_lo, s41
	s_and_saveexec_b32 s41, s16
	s_cbranch_execnz .LBB16_80
.LBB16_48:                              ;   in Loop: Header=BB16_31 Depth=1
	s_or_b32 exec_lo, exec_lo, s41
	s_and_saveexec_b32 s41, s17
	s_cbranch_execnz .LBB16_81
.LBB16_49:                              ;   in Loop: Header=BB16_31 Depth=1
	s_or_b32 exec_lo, exec_lo, s41
	s_and_saveexec_b32 s41, s18
	s_cbranch_execnz .LBB16_82
.LBB16_50:                              ;   in Loop: Header=BB16_31 Depth=1
	s_or_b32 exec_lo, exec_lo, s41
	s_and_saveexec_b32 s41, s19
	s_cbranch_execnz .LBB16_83
.LBB16_51:                              ;   in Loop: Header=BB16_31 Depth=1
	s_or_b32 exec_lo, exec_lo, s41
	s_and_saveexec_b32 s41, s20
	s_cbranch_execnz .LBB16_84
.LBB16_52:                              ;   in Loop: Header=BB16_31 Depth=1
	s_or_b32 exec_lo, exec_lo, s41
	s_and_saveexec_b32 s41, s21
	s_cbranch_execnz .LBB16_85
.LBB16_53:                              ;   in Loop: Header=BB16_31 Depth=1
	s_or_b32 exec_lo, exec_lo, s41
	s_and_saveexec_b32 s41, s22
	s_cbranch_execnz .LBB16_86
.LBB16_54:                              ;   in Loop: Header=BB16_31 Depth=1
	s_or_b32 exec_lo, exec_lo, s41
	s_and_saveexec_b32 s41, s23
	s_cbranch_execnz .LBB16_87
.LBB16_55:                              ;   in Loop: Header=BB16_31 Depth=1
	s_or_b32 exec_lo, exec_lo, s41
	s_and_saveexec_b32 s41, s24
	s_cbranch_execnz .LBB16_88
.LBB16_56:                              ;   in Loop: Header=BB16_31 Depth=1
	s_or_b32 exec_lo, exec_lo, s41
	s_and_saveexec_b32 s41, s25
	s_cbranch_execnz .LBB16_89
.LBB16_57:                              ;   in Loop: Header=BB16_31 Depth=1
	s_or_b32 exec_lo, exec_lo, s41
	s_and_saveexec_b32 s41, s26
	s_cbranch_execnz .LBB16_90
.LBB16_58:                              ;   in Loop: Header=BB16_31 Depth=1
	s_or_b32 exec_lo, exec_lo, s41
	s_and_saveexec_b32 s41, s27
	s_cbranch_execnz .LBB16_91
.LBB16_59:                              ;   in Loop: Header=BB16_31 Depth=1
	s_or_b32 exec_lo, exec_lo, s41
	s_and_saveexec_b32 s41, s28
	s_cbranch_execnz .LBB16_92
.LBB16_60:                              ;   in Loop: Header=BB16_31 Depth=1
	s_or_b32 exec_lo, exec_lo, s41
	s_and_saveexec_b32 s41, s29
	s_cbranch_execnz .LBB16_93
.LBB16_61:                              ;   in Loop: Header=BB16_31 Depth=1
	s_or_b32 exec_lo, exec_lo, s41
	s_and_saveexec_b32 s41, s30
	s_cbranch_execnz .LBB16_94
.LBB16_62:                              ;   in Loop: Header=BB16_31 Depth=1
	s_or_b32 exec_lo, exec_lo, s41
	s_and_saveexec_b32 s41, s31
	s_cbranch_execnz .LBB16_95
.LBB16_63:                              ;   in Loop: Header=BB16_31 Depth=1
	s_or_b32 exec_lo, exec_lo, s41
	s_and_saveexec_b32 s31, vcc_lo
	s_cbranch_execz .LBB16_30
	s_branch .LBB16_96
.LBB16_64:                              ;   in Loop: Header=BB16_31 Depth=1
	ds_load_b32 v9, v3 offset:32768
	s_wait_dscnt 0x0
	v_add_nc_u32_e32 v8, v9, v8
	s_or_b32 exec_lo, exec_lo, s41
	s_and_saveexec_b32 s41, s1
	s_cbranch_execz .LBB16_33
.LBB16_65:                              ;   in Loop: Header=BB16_31 Depth=1
	ds_load_b32 v9, v3 offset:32772
	s_wait_dscnt 0x0
	v_add_nc_u32_e32 v8, v9, v8
	s_or_b32 exec_lo, exec_lo, s41
	s_and_saveexec_b32 s41, s2
	s_cbranch_execz .LBB16_34
.LBB16_66:                              ;   in Loop: Header=BB16_31 Depth=1
	ds_load_b32 v9, v3 offset:32776
	s_wait_dscnt 0x0
	v_add_nc_u32_e32 v8, v9, v8
	s_or_b32 exec_lo, exec_lo, s41
	s_and_saveexec_b32 s41, s3
	s_cbranch_execz .LBB16_35
.LBB16_67:                              ;   in Loop: Header=BB16_31 Depth=1
	ds_load_b32 v9, v3 offset:32780
	s_wait_dscnt 0x0
	v_add_nc_u32_e32 v8, v9, v8
	s_or_b32 exec_lo, exec_lo, s41
	s_and_saveexec_b32 s41, s4
	s_cbranch_execz .LBB16_36
.LBB16_68:                              ;   in Loop: Header=BB16_31 Depth=1
	ds_load_b32 v9, v3 offset:32784
	s_wait_dscnt 0x0
	v_add_nc_u32_e32 v8, v9, v8
	s_or_b32 exec_lo, exec_lo, s41
	s_and_saveexec_b32 s41, s5
	s_cbranch_execz .LBB16_37
.LBB16_69:                              ;   in Loop: Header=BB16_31 Depth=1
	ds_load_b32 v9, v3 offset:32788
	s_wait_dscnt 0x0
	v_add_nc_u32_e32 v8, v9, v8
	s_or_b32 exec_lo, exec_lo, s41
	s_and_saveexec_b32 s41, s6
	s_cbranch_execz .LBB16_38
.LBB16_70:                              ;   in Loop: Header=BB16_31 Depth=1
	ds_load_b32 v9, v3 offset:32792
	s_wait_dscnt 0x0
	v_add_nc_u32_e32 v8, v9, v8
	s_or_b32 exec_lo, exec_lo, s41
	s_and_saveexec_b32 s41, s7
	s_cbranch_execz .LBB16_39
.LBB16_71:                              ;   in Loop: Header=BB16_31 Depth=1
	ds_load_b32 v9, v3 offset:32796
	s_wait_dscnt 0x0
	v_add_nc_u32_e32 v8, v9, v8
	s_or_b32 exec_lo, exec_lo, s41
	s_and_saveexec_b32 s41, s8
	s_cbranch_execz .LBB16_40
.LBB16_72:                              ;   in Loop: Header=BB16_31 Depth=1
	ds_load_b32 v9, v3 offset:32800
	s_wait_dscnt 0x0
	v_add_nc_u32_e32 v8, v9, v8
	s_or_b32 exec_lo, exec_lo, s41
	s_and_saveexec_b32 s41, s9
	s_cbranch_execz .LBB16_41
.LBB16_73:                              ;   in Loop: Header=BB16_31 Depth=1
	ds_load_b32 v9, v3 offset:32804
	s_wait_dscnt 0x0
	v_add_nc_u32_e32 v8, v9, v8
	s_or_b32 exec_lo, exec_lo, s41
	s_and_saveexec_b32 s41, s10
	s_cbranch_execz .LBB16_42
.LBB16_74:                              ;   in Loop: Header=BB16_31 Depth=1
	ds_load_b32 v9, v3 offset:32808
	s_wait_dscnt 0x0
	v_add_nc_u32_e32 v8, v9, v8
	s_or_b32 exec_lo, exec_lo, s41
	s_and_saveexec_b32 s41, s11
	s_cbranch_execz .LBB16_43
.LBB16_75:                              ;   in Loop: Header=BB16_31 Depth=1
	ds_load_b32 v9, v3 offset:32812
	s_wait_dscnt 0x0
	v_add_nc_u32_e32 v8, v9, v8
	s_or_b32 exec_lo, exec_lo, s41
	s_and_saveexec_b32 s41, s12
	s_cbranch_execz .LBB16_44
.LBB16_76:                              ;   in Loop: Header=BB16_31 Depth=1
	ds_load_b32 v9, v3 offset:32816
	s_wait_dscnt 0x0
	v_add_nc_u32_e32 v8, v9, v8
	s_or_b32 exec_lo, exec_lo, s41
	s_and_saveexec_b32 s41, s13
	s_cbranch_execz .LBB16_45
.LBB16_77:                              ;   in Loop: Header=BB16_31 Depth=1
	ds_load_b32 v9, v3 offset:32820
	s_wait_dscnt 0x0
	v_add_nc_u32_e32 v8, v9, v8
	s_or_b32 exec_lo, exec_lo, s41
	s_and_saveexec_b32 s41, s14
	s_cbranch_execz .LBB16_46
.LBB16_78:                              ;   in Loop: Header=BB16_31 Depth=1
	ds_load_b32 v9, v3 offset:32824
	s_wait_dscnt 0x0
	v_add_nc_u32_e32 v8, v9, v8
	s_or_b32 exec_lo, exec_lo, s41
	s_and_saveexec_b32 s41, s15
	s_cbranch_execz .LBB16_47
.LBB16_79:                              ;   in Loop: Header=BB16_31 Depth=1
	ds_load_b32 v9, v3 offset:32828
	s_wait_dscnt 0x0
	v_add_nc_u32_e32 v8, v9, v8
	s_or_b32 exec_lo, exec_lo, s41
	s_and_saveexec_b32 s41, s16
	s_cbranch_execz .LBB16_48
.LBB16_80:                              ;   in Loop: Header=BB16_31 Depth=1
	ds_load_b32 v9, v3 offset:32832
	s_wait_dscnt 0x0
	v_add_nc_u32_e32 v8, v9, v8
	s_or_b32 exec_lo, exec_lo, s41
	s_and_saveexec_b32 s41, s17
	s_cbranch_execz .LBB16_49
.LBB16_81:                              ;   in Loop: Header=BB16_31 Depth=1
	ds_load_b32 v9, v3 offset:32836
	s_wait_dscnt 0x0
	v_add_nc_u32_e32 v8, v9, v8
	s_or_b32 exec_lo, exec_lo, s41
	s_and_saveexec_b32 s41, s18
	s_cbranch_execz .LBB16_50
.LBB16_82:                              ;   in Loop: Header=BB16_31 Depth=1
	ds_load_b32 v9, v3 offset:32840
	s_wait_dscnt 0x0
	v_add_nc_u32_e32 v8, v9, v8
	s_or_b32 exec_lo, exec_lo, s41
	s_and_saveexec_b32 s41, s19
	s_cbranch_execz .LBB16_51
.LBB16_83:                              ;   in Loop: Header=BB16_31 Depth=1
	ds_load_b32 v9, v3 offset:32844
	s_wait_dscnt 0x0
	v_add_nc_u32_e32 v8, v9, v8
	s_or_b32 exec_lo, exec_lo, s41
	s_and_saveexec_b32 s41, s20
	s_cbranch_execz .LBB16_52
.LBB16_84:                              ;   in Loop: Header=BB16_31 Depth=1
	ds_load_b32 v9, v3 offset:32848
	s_wait_dscnt 0x0
	v_add_nc_u32_e32 v8, v9, v8
	s_or_b32 exec_lo, exec_lo, s41
	s_and_saveexec_b32 s41, s21
	s_cbranch_execz .LBB16_53
.LBB16_85:                              ;   in Loop: Header=BB16_31 Depth=1
	ds_load_b32 v9, v3 offset:32852
	s_wait_dscnt 0x0
	v_add_nc_u32_e32 v8, v9, v8
	s_or_b32 exec_lo, exec_lo, s41
	s_and_saveexec_b32 s41, s22
	s_cbranch_execz .LBB16_54
.LBB16_86:                              ;   in Loop: Header=BB16_31 Depth=1
	ds_load_b32 v9, v3 offset:32856
	s_wait_dscnt 0x0
	v_add_nc_u32_e32 v8, v9, v8
	s_or_b32 exec_lo, exec_lo, s41
	s_and_saveexec_b32 s41, s23
	s_cbranch_execz .LBB16_55
.LBB16_87:                              ;   in Loop: Header=BB16_31 Depth=1
	ds_load_b32 v9, v3 offset:32860
	s_wait_dscnt 0x0
	v_add_nc_u32_e32 v8, v9, v8
	s_or_b32 exec_lo, exec_lo, s41
	s_and_saveexec_b32 s41, s24
	s_cbranch_execz .LBB16_56
.LBB16_88:                              ;   in Loop: Header=BB16_31 Depth=1
	ds_load_b32 v9, v3 offset:32864
	s_wait_dscnt 0x0
	v_add_nc_u32_e32 v8, v9, v8
	s_or_b32 exec_lo, exec_lo, s41
	s_and_saveexec_b32 s41, s25
	s_cbranch_execz .LBB16_57
.LBB16_89:                              ;   in Loop: Header=BB16_31 Depth=1
	ds_load_b32 v9, v3 offset:32868
	s_wait_dscnt 0x0
	v_add_nc_u32_e32 v8, v9, v8
	s_or_b32 exec_lo, exec_lo, s41
	s_and_saveexec_b32 s41, s26
	s_cbranch_execz .LBB16_58
.LBB16_90:                              ;   in Loop: Header=BB16_31 Depth=1
	ds_load_b32 v9, v3 offset:32872
	s_wait_dscnt 0x0
	v_add_nc_u32_e32 v8, v9, v8
	s_or_b32 exec_lo, exec_lo, s41
	s_and_saveexec_b32 s41, s27
	s_cbranch_execz .LBB16_59
.LBB16_91:                              ;   in Loop: Header=BB16_31 Depth=1
	ds_load_b32 v9, v3 offset:32876
	s_wait_dscnt 0x0
	v_add_nc_u32_e32 v8, v9, v8
	s_or_b32 exec_lo, exec_lo, s41
	s_and_saveexec_b32 s41, s28
	s_cbranch_execz .LBB16_60
.LBB16_92:                              ;   in Loop: Header=BB16_31 Depth=1
	ds_load_b32 v9, v3 offset:32880
	s_wait_dscnt 0x0
	v_add_nc_u32_e32 v8, v9, v8
	s_or_b32 exec_lo, exec_lo, s41
	s_and_saveexec_b32 s41, s29
	s_cbranch_execz .LBB16_61
.LBB16_93:                              ;   in Loop: Header=BB16_31 Depth=1
	ds_load_b32 v9, v3 offset:32884
	s_wait_dscnt 0x0
	v_add_nc_u32_e32 v8, v9, v8
	s_or_b32 exec_lo, exec_lo, s41
	s_and_saveexec_b32 s41, s30
	s_cbranch_execz .LBB16_62
.LBB16_94:                              ;   in Loop: Header=BB16_31 Depth=1
	ds_load_b32 v9, v3 offset:32888
	s_wait_dscnt 0x0
	v_add_nc_u32_e32 v8, v9, v8
	s_or_b32 exec_lo, exec_lo, s41
	s_and_saveexec_b32 s41, s31
	s_cbranch_execz .LBB16_63
.LBB16_95:                              ;   in Loop: Header=BB16_31 Depth=1
	s_delay_alu instid0(VALU_DEP_1) | instskip(NEXT) | instid1(VALU_DEP_1)
	v_dual_lshlrev_b32 v9, 2, v6 :: v_dual_lshlrev_b32 v10, 2, v8
	v_add_nc_u32_e32 v9, 0, v9
	s_delay_alu instid0(VALU_DEP_1)
	v_add3_u32 v9, v9, v10, -4
	ds_store_b32 v9, v7
	s_or_b32 exec_lo, exec_lo, s41
	s_and_saveexec_b32 s31, vcc_lo
	s_cbranch_execz .LBB16_30
.LBB16_96:                              ;   in Loop: Header=BB16_31 Depth=1
	ds_store_b32 v3, v8 offset:32892
	s_branch .LBB16_30
.LBB16_97:
	s_or_b32 exec_lo, exec_lo, s39
	s_ashr_i32 s41, s40, 31
	s_delay_alu instid0(SALU_CYCLE_1)
	s_lshl_b64 s[0:1], s[40:41], 2
	s_wait_kmcnt 0x0
	s_add_nc_u64 s[2:3], s[36:37], s[0:1]
	s_load_b64 s[0:1], s[2:3], 0x0
	s_wait_kmcnt 0x0
	s_sub_co_i32 s4, s1, s0
	s_mov_b32 s1, exec_lo
	v_cmpx_gt_i32_e64 s4, v0
	s_cbranch_execz .LBB16_111
; %bb.98:
	v_sub_co_u32 v1, s1, s4, 2
	s_sub_co_i32 s2, s0, s38
	s_xor_b32 s6, s1, -1
	s_and_b32 s5, s4, -2
	v_readfirstlane_b32 s3, v1
	s_lshr_b32 s0, s3, 1
	s_mov_b32 s3, 0
	s_add_co_i32 s0, s0, 1
	s_mov_b32 s11, s3
	s_and_b32 s1, s0, 7
	s_and_b32 s7, s0, -8
	s_cmp_lg_u32 s1, 0
	v_cmp_lt_u32_e64 s0, 13, v1
	s_cselect_b32 s8, -1, 0
	s_cmp_lg_u32 s4, s5
	s_cselect_b32 s9, -1, 0
	s_lshl_b32 s10, s1, 3
	s_branch .LBB16_100
.LBB16_99:                              ;   in Loop: Header=BB16_100 Depth=1
	v_add_nc_u32_e32 v0, 0x400, v0
	s_wait_dscnt 0x0
	v_add_nc_u32_e32 v1, s38, v1
	s_delay_alu instid0(VALU_DEP_2)
	v_cmp_le_i32_e32 vcc_lo, s4, v0
	global_store_b32 v2, v1, s[34:35] scale_offset
	s_or_b32 s11, vcc_lo, s11
	s_wait_xcnt 0x0
	s_and_not1_b32 exec_lo, exec_lo, s11
	s_cbranch_execz .LBB16_111
.LBB16_100:                             ; =>This Loop Header: Depth=1
                                        ;     Child Loop BB16_103 Depth 2
                                        ;     Child Loop BB16_106 Depth 2
	;; [unrolled: 1-line block ×3, first 2 shown]
	v_lshl_add_u32 v1, v0, 2, 0
	v_mov_b32_e32 v2, s2
	s_and_not1_b32 vcc_lo, exec_lo, s6
	s_mov_b32 s1, 0
	s_mov_b32 s12, -1
	ds_load_b32 v1, v1
	s_cbranch_vccnz .LBB16_108
; %bb.101:                              ;   in Loop: Header=BB16_100 Depth=1
	v_mov_b64_e32 v[2:3], s[2:3]
	s_and_not1_b32 vcc_lo, exec_lo, s0
	s_mov_b32 s12, 0
	s_cbranch_vccnz .LBB16_104
; %bb.102:                              ;   in Loop: Header=BB16_100 Depth=1
	v_dual_mov_b32 v2, s2 :: v_dual_mov_b32 v3, 0
	s_mov_b32 s13, 0
	s_mov_b32 s14, s7
.LBB16_103:                             ;   Parent Loop BB16_100 Depth=1
                                        ; =>  This Inner Loop Header: Depth=2
	v_mov_b32_e32 v18, s13
	s_add_co_i32 s14, s14, -8
	s_add_co_i32 s12, s12, 16
	s_add_co_i32 s13, s13, 64
	s_cmp_lg_u32 s14, 0
	ds_load_2addr_b32 v[4:5], v18 offset1:1
	ds_load_2addr_b32 v[6:7], v18 offset0:2 offset1:3
	ds_load_2addr_b32 v[8:9], v18 offset0:4 offset1:5
	;; [unrolled: 1-line block ×7, first 2 shown]
	s_wait_dscnt 0x7
	v_cmp_gt_i32_e32 vcc_lo, v1, v5
	s_wait_dscnt 0x5
	v_cmp_gt_i32_e64 s1, v1, v8
	v_cndmask_b32_e64 v5, 0, 1, vcc_lo
	v_cmp_gt_i32_e32 vcc_lo, v1, v4
	v_cndmask_b32_e64 v4, 0, 1, vcc_lo
	v_cmp_gt_i32_e32 vcc_lo, v1, v6
	v_cndmask_b32_e64 v6, 0, 1, s1
	v_cmp_gt_i32_e64 s1, v1, v9
	s_delay_alu instid0(VALU_DEP_4) | instskip(NEXT) | instid1(VALU_DEP_2)
	v_add_co_ci_u32_e64 v2, null, v2, v4, vcc_lo
	v_cndmask_b32_e64 v8, 0, 1, s1
	s_wait_dscnt 0x4
	v_cmp_gt_i32_e64 s1, v1, v11
	s_wait_dscnt 0x2
	v_cmp_gt_i32_e32 vcc_lo, v1, v14
	s_delay_alu instid0(VALU_DEP_2) | instskip(SKIP_4) | instid1(VALU_DEP_3)
	v_cndmask_b32_e64 v9, 0, 1, s1
	v_cmp_gt_i32_e64 s1, v1, v10
	v_add_co_ci_u32_e64 v2, null, v2, v6, vcc_lo
	s_wait_dscnt 0x1
	v_cmp_gt_i32_e32 vcc_lo, v1, v16
	v_cndmask_b32_e64 v10, 0, 1, s1
	v_cmp_gt_i32_e64 s1, v1, v12
	s_delay_alu instid0(VALU_DEP_2) | instskip(NEXT) | instid1(VALU_DEP_2)
	v_add_co_ci_u32_e64 v2, null, v2, v10, vcc_lo
	v_cndmask_b32_e64 v11, 0, 1, s1
	v_cmp_gt_i32_e64 s1, v1, v13
	s_wait_dscnt 0x0
	v_cmp_gt_i32_e32 vcc_lo, v1, v18
	s_delay_alu instid0(VALU_DEP_2) | instskip(SKIP_2) | instid1(VALU_DEP_2)
	v_cndmask_b32_e64 v12, 0, 1, s1
	v_cmp_gt_i32_e64 s1, v1, v7
	v_add_co_ci_u32_e64 v2, null, v2, v11, vcc_lo
	v_add_co_ci_u32_e64 v3, null, v3, v5, s1
	v_cmp_gt_i32_e64 s1, v1, v15
	s_delay_alu instid0(VALU_DEP_1) | instskip(SKIP_1) | instid1(VALU_DEP_1)
	v_add_co_ci_u32_e64 v3, null, v3, v8, s1
	v_cmp_gt_i32_e64 s1, v1, v17
	v_add_co_ci_u32_e64 v3, null, v3, v9, s1
	v_cmp_gt_i32_e64 s1, v1, v19
	s_delay_alu instid0(VALU_DEP_1)
	v_add_co_ci_u32_e64 v3, null, v3, v12, s1
	s_cbranch_scc1 .LBB16_103
.LBB16_104:                             ;   in Loop: Header=BB16_100 Depth=1
	s_and_not1_b32 vcc_lo, exec_lo, s8
	s_cbranch_vccnz .LBB16_107
; %bb.105:                              ;   in Loop: Header=BB16_100 Depth=1
	s_lshl_b32 s1, s12, 2
	s_mov_b32 s12, s10
	s_add_co_i32 s1, s1, 0
.LBB16_106:                             ;   Parent Loop BB16_100 Depth=1
                                        ; =>  This Inner Loop Header: Depth=2
	s_delay_alu instid0(SALU_CYCLE_1)
	v_mov_b32_e32 v4, s1
	s_add_co_i32 s12, s12, -8
	s_add_co_i32 s1, s1, 8
	s_cmp_lg_u32 s12, 0
	ds_load_2addr_b32 v[4:5], v4 offset1:1
	s_wait_dscnt 0x0
	v_cmp_gt_i32_e32 vcc_lo, v1, v5
	v_add_co_ci_u32_e64 v3, null, 0, v3, vcc_lo
	v_cmp_gt_i32_e32 vcc_lo, v1, v4
	v_add_co_ci_u32_e64 v2, null, 0, v2, vcc_lo
	s_cbranch_scc1 .LBB16_106
.LBB16_107:                             ;   in Loop: Header=BB16_100 Depth=1
	s_delay_alu instid0(VALU_DEP_1)
	v_add_nc_u32_e32 v2, v2, v3
	s_mov_b32 s1, s5
	s_mov_b32 s12, s9
.LBB16_108:                             ;   in Loop: Header=BB16_100 Depth=1
	s_delay_alu instid0(SALU_CYCLE_1)
	s_and_b32 vcc_lo, exec_lo, s12
	s_cbranch_vccz .LBB16_99
; %bb.109:                              ;   in Loop: Header=BB16_100 Depth=1
	s_lshl_b32 s12, s1, 2
	s_delay_alu instid0(SALU_CYCLE_1)
	s_add_co_i32 s12, s12, 0
.LBB16_110:                             ;   Parent Loop BB16_100 Depth=1
                                        ; =>  This Inner Loop Header: Depth=2
	s_delay_alu instid0(SALU_CYCLE_1)
	v_mov_b32_e32 v3, s12
	s_add_co_i32 s1, s1, 1
	s_add_co_i32 s12, s12, 4
	s_cmp_ge_i32 s1, s4
	ds_load_b32 v3, v3
	s_wait_dscnt 0x0
	v_cmp_gt_i32_e32 vcc_lo, v1, v3
	v_add_co_ci_u32_e64 v2, null, 0, v2, vcc_lo
	s_cbranch_scc0 .LBB16_110
	s_branch .LBB16_99
.LBB16_111:
	s_endpgm
	.section	.rodata,"a",@progbits
	.p2align	6, 0x0
	.amdhsa_kernel _ZN9rocsparseL35csrgemm_symbolic_fill_block_per_rowILj1024ELj64ELj8192ELj137ELj32EiiEEvT5_PKS1_S3_PKT4_S3_S6_S3_S6_S3_S6_PS1_21rocsparse_index_base_S8_S8_S8_bb
		.amdhsa_group_segment_fixed_size 0
		.amdhsa_private_segment_fixed_size 0
		.amdhsa_kernarg_size 108
		.amdhsa_user_sgpr_count 2
		.amdhsa_user_sgpr_dispatch_ptr 0
		.amdhsa_user_sgpr_queue_ptr 0
		.amdhsa_user_sgpr_kernarg_segment_ptr 1
		.amdhsa_user_sgpr_dispatch_id 0
		.amdhsa_user_sgpr_kernarg_preload_length 0
		.amdhsa_user_sgpr_kernarg_preload_offset 0
		.amdhsa_user_sgpr_private_segment_size 0
		.amdhsa_wavefront_size32 1
		.amdhsa_uses_dynamic_stack 0
		.amdhsa_enable_private_segment 0
		.amdhsa_system_sgpr_workgroup_id_x 1
		.amdhsa_system_sgpr_workgroup_id_y 0
		.amdhsa_system_sgpr_workgroup_id_z 0
		.amdhsa_system_sgpr_workgroup_info 0
		.amdhsa_system_vgpr_workitem_id 0
		.amdhsa_next_free_vgpr 20
		.amdhsa_next_free_sgpr 42
		.amdhsa_named_barrier_count 0
		.amdhsa_reserve_vcc 1
		.amdhsa_float_round_mode_32 0
		.amdhsa_float_round_mode_16_64 0
		.amdhsa_float_denorm_mode_32 3
		.amdhsa_float_denorm_mode_16_64 3
		.amdhsa_fp16_overflow 0
		.amdhsa_memory_ordered 1
		.amdhsa_forward_progress 1
		.amdhsa_inst_pref_size 30
		.amdhsa_round_robin_scheduling 0
		.amdhsa_exception_fp_ieee_invalid_op 0
		.amdhsa_exception_fp_denorm_src 0
		.amdhsa_exception_fp_ieee_div_zero 0
		.amdhsa_exception_fp_ieee_overflow 0
		.amdhsa_exception_fp_ieee_underflow 0
		.amdhsa_exception_fp_ieee_inexact 0
		.amdhsa_exception_int_div_zero 0
	.end_amdhsa_kernel
	.section	.text._ZN9rocsparseL35csrgemm_symbolic_fill_block_per_rowILj1024ELj64ELj8192ELj137ELj32EiiEEvT5_PKS1_S3_PKT4_S3_S6_S3_S6_S3_S6_PS1_21rocsparse_index_base_S8_S8_S8_bb,"axG",@progbits,_ZN9rocsparseL35csrgemm_symbolic_fill_block_per_rowILj1024ELj64ELj8192ELj137ELj32EiiEEvT5_PKS1_S3_PKT4_S3_S6_S3_S6_S3_S6_PS1_21rocsparse_index_base_S8_S8_S8_bb,comdat
.Lfunc_end16:
	.size	_ZN9rocsparseL35csrgemm_symbolic_fill_block_per_rowILj1024ELj64ELj8192ELj137ELj32EiiEEvT5_PKS1_S3_PKT4_S3_S6_S3_S6_S3_S6_PS1_21rocsparse_index_base_S8_S8_S8_bb, .Lfunc_end16-_ZN9rocsparseL35csrgemm_symbolic_fill_block_per_rowILj1024ELj64ELj8192ELj137ELj32EiiEEvT5_PKS1_S3_PKT4_S3_S6_S3_S6_S3_S6_PS1_21rocsparse_index_base_S8_S8_S8_bb
                                        ; -- End function
	.set _ZN9rocsparseL35csrgemm_symbolic_fill_block_per_rowILj1024ELj64ELj8192ELj137ELj32EiiEEvT5_PKS1_S3_PKT4_S3_S6_S3_S6_S3_S6_PS1_21rocsparse_index_base_S8_S8_S8_bb.num_vgpr, 20
	.set _ZN9rocsparseL35csrgemm_symbolic_fill_block_per_rowILj1024ELj64ELj8192ELj137ELj32EiiEEvT5_PKS1_S3_PKT4_S3_S6_S3_S6_S3_S6_PS1_21rocsparse_index_base_S8_S8_S8_bb.num_agpr, 0
	.set _ZN9rocsparseL35csrgemm_symbolic_fill_block_per_rowILj1024ELj64ELj8192ELj137ELj32EiiEEvT5_PKS1_S3_PKT4_S3_S6_S3_S6_S3_S6_PS1_21rocsparse_index_base_S8_S8_S8_bb.numbered_sgpr, 42
	.set _ZN9rocsparseL35csrgemm_symbolic_fill_block_per_rowILj1024ELj64ELj8192ELj137ELj32EiiEEvT5_PKS1_S3_PKT4_S3_S6_S3_S6_S3_S6_PS1_21rocsparse_index_base_S8_S8_S8_bb.num_named_barrier, 0
	.set _ZN9rocsparseL35csrgemm_symbolic_fill_block_per_rowILj1024ELj64ELj8192ELj137ELj32EiiEEvT5_PKS1_S3_PKT4_S3_S6_S3_S6_S3_S6_PS1_21rocsparse_index_base_S8_S8_S8_bb.private_seg_size, 0
	.set _ZN9rocsparseL35csrgemm_symbolic_fill_block_per_rowILj1024ELj64ELj8192ELj137ELj32EiiEEvT5_PKS1_S3_PKT4_S3_S6_S3_S6_S3_S6_PS1_21rocsparse_index_base_S8_S8_S8_bb.uses_vcc, 1
	.set _ZN9rocsparseL35csrgemm_symbolic_fill_block_per_rowILj1024ELj64ELj8192ELj137ELj32EiiEEvT5_PKS1_S3_PKT4_S3_S6_S3_S6_S3_S6_PS1_21rocsparse_index_base_S8_S8_S8_bb.uses_flat_scratch, 0
	.set _ZN9rocsparseL35csrgemm_symbolic_fill_block_per_rowILj1024ELj64ELj8192ELj137ELj32EiiEEvT5_PKS1_S3_PKT4_S3_S6_S3_S6_S3_S6_PS1_21rocsparse_index_base_S8_S8_S8_bb.has_dyn_sized_stack, 0
	.set _ZN9rocsparseL35csrgemm_symbolic_fill_block_per_rowILj1024ELj64ELj8192ELj137ELj32EiiEEvT5_PKS1_S3_PKT4_S3_S6_S3_S6_S3_S6_PS1_21rocsparse_index_base_S8_S8_S8_bb.has_recursion, 0
	.set _ZN9rocsparseL35csrgemm_symbolic_fill_block_per_rowILj1024ELj64ELj8192ELj137ELj32EiiEEvT5_PKS1_S3_PKT4_S3_S6_S3_S6_S3_S6_PS1_21rocsparse_index_base_S8_S8_S8_bb.has_indirect_call, 0
	.section	.AMDGPU.csdata,"",@progbits
; Kernel info:
; codeLenInByte = 3816
; TotalNumSgprs: 44
; NumVgprs: 20
; ScratchSize: 0
; MemoryBound: 0
; FloatMode: 240
; IeeeMode: 1
; LDSByteSize: 0 bytes/workgroup (compile time only)
; SGPRBlocks: 0
; VGPRBlocks: 1
; NumSGPRsForWavesPerEU: 44
; NumVGPRsForWavesPerEU: 20
; NamedBarCnt: 0
; Occupancy: 16
; WaveLimiterHint : 1
; COMPUTE_PGM_RSRC2:SCRATCH_EN: 0
; COMPUTE_PGM_RSRC2:USER_SGPR: 2
; COMPUTE_PGM_RSRC2:TRAP_HANDLER: 0
; COMPUTE_PGM_RSRC2:TGID_X_EN: 1
; COMPUTE_PGM_RSRC2:TGID_Y_EN: 0
; COMPUTE_PGM_RSRC2:TGID_Z_EN: 0
; COMPUTE_PGM_RSRC2:TIDIG_COMP_CNT: 0
	.section	.text._ZN9rocsparseL35csrgemm_symbolic_fill_block_per_rowILj1024ELj64ELj8192ELj137ELj64EiiEEvT5_PKS1_S3_PKT4_S3_S6_S3_S6_S3_S6_PS1_21rocsparse_index_base_S8_S8_S8_bb,"axG",@progbits,_ZN9rocsparseL35csrgemm_symbolic_fill_block_per_rowILj1024ELj64ELj8192ELj137ELj64EiiEEvT5_PKS1_S3_PKT4_S3_S6_S3_S6_S3_S6_PS1_21rocsparse_index_base_S8_S8_S8_bb,comdat
	.globl	_ZN9rocsparseL35csrgemm_symbolic_fill_block_per_rowILj1024ELj64ELj8192ELj137ELj64EiiEEvT5_PKS1_S3_PKT4_S3_S6_S3_S6_S3_S6_PS1_21rocsparse_index_base_S8_S8_S8_bb ; -- Begin function _ZN9rocsparseL35csrgemm_symbolic_fill_block_per_rowILj1024ELj64ELj8192ELj137ELj64EiiEEvT5_PKS1_S3_PKT4_S3_S6_S3_S6_S3_S6_PS1_21rocsparse_index_base_S8_S8_S8_bb
	.p2align	8
	.type	_ZN9rocsparseL35csrgemm_symbolic_fill_block_per_rowILj1024ELj64ELj8192ELj137ELj64EiiEEvT5_PKS1_S3_PKT4_S3_S6_S3_S6_S3_S6_PS1_21rocsparse_index_base_S8_S8_S8_bb,@function
_ZN9rocsparseL35csrgemm_symbolic_fill_block_per_rowILj1024ELj64ELj8192ELj137ELj64EiiEEvT5_PKS1_S3_PKT4_S3_S6_S3_S6_S3_S6_PS1_21rocsparse_index_base_S8_S8_S8_bb: ; @_ZN9rocsparseL35csrgemm_symbolic_fill_block_per_rowILj1024ELj64ELj8192ELj137ELj64EiiEEvT5_PKS1_S3_PKT4_S3_S6_S3_S6_S3_S6_PS1_21rocsparse_index_base_S8_S8_S8_bb
; %bb.0:
	s_clause 0x1
	s_load_b32 s24, s[0:1], 0x0
	s_load_b128 s[4:7], s[0:1], 0x8
	v_lshl_add_u32 v1, v0, 2, 0
	s_bfe_u32 s3, ttmp6, 0x4000c
	s_load_b32 s8, s[0:1], 0x68
	s_add_co_i32 s3, s3, 1
	s_delay_alu instid0(SALU_CYCLE_1)
	s_mul_i32 s3, ttmp9, s3
	s_wait_kmcnt 0x0
	v_dual_mov_b32 v2, s24 :: v_dual_mov_b32 v3, s24
	v_dual_mov_b32 v4, s24 :: v_dual_mov_b32 v5, s24
	;; [unrolled: 1-line block ×4, first 2 shown]
	ds_store_2addr_stride64_b32 v1, v2, v3 offset1:16
	ds_store_2addr_stride64_b32 v1, v4, v5 offset0:32 offset1:48
	ds_store_2addr_stride64_b32 v1, v6, v7 offset0:64 offset1:80
	;; [unrolled: 1-line block ×3, first 2 shown]
	s_wait_dscnt 0x0
	s_barrier_signal -1
	s_barrier_wait -1
	s_load_b32 s2, s[4:5], 0x0
	s_wait_xcnt 0x0
	s_and_b32 s4, ttmp6, 15
	s_getreg_b32 s5, hwreg(HW_REG_IB_STS2, 6, 4)
	s_add_co_i32 s4, s4, s3
	s_cmp_eq_u32 s5, 0
	v_lshrrev_b32_e32 v2, 6, v0
	s_cselect_b32 s3, ttmp9, s4
	s_wait_kmcnt 0x0
	s_add_co_i32 s2, s2, s3
	s_load_b128 s[16:19], s[0:1], 0x58
	s_load_b32 s20, s[6:7], s2 offset:0x0 scale_offset
	s_bitcmp0_b32 s8, 0
	s_cbranch_scc1 .LBB17_16
; %bb.1:
	s_wait_xcnt 0x0
	s_load_b64 s[2:3], s[0:1], 0x18
	s_wait_kmcnt 0x0
	s_ashr_i32 s21, s20, 31
	v_subrev_nc_u32_e32 v3, s16, v2
	s_lshl_b64 s[4:5], s[20:21], 2
	s_mov_b32 s10, exec_lo
	s_add_nc_u64 s[2:3], s[2:3], s[4:5]
	s_load_b64 s[4:5], s[2:3], 0x0
	s_wait_kmcnt 0x0
	v_add_nc_u32_e32 v3, s4, v3
	s_sub_co_i32 s9, s5, s16
	s_delay_alu instid0(VALU_DEP_1) | instid1(SALU_CYCLE_1)
	v_cmpx_gt_i32_e64 s9, v3
	s_cbranch_execz .LBB17_15
; %bb.2:
	s_clause 0x1
	s_load_b128 s[4:7], s[0:1], 0x20
	s_load_b64 s[2:3], s[0:1], 0x30
	v_and_b32_e32 v4, 63, v0
	s_mov_b32 s11, 0
	s_delay_alu instid0(VALU_DEP_1)
	v_subrev_nc_u32_e32 v4, s17, v4
	s_branch .LBB17_4
.LBB17_3:                               ;   in Loop: Header=BB17_4 Depth=1
	s_or_b32 exec_lo, exec_lo, s12
	v_add_nc_u32_e32 v3, 16, v3
	s_delay_alu instid0(VALU_DEP_1) | instskip(SKIP_1) | instid1(SALU_CYCLE_1)
	v_cmp_le_i32_e32 vcc_lo, s9, v3
	s_or_b32 s11, vcc_lo, s11
	s_and_not1_b32 exec_lo, exec_lo, s11
	s_cbranch_execz .LBB17_15
.LBB17_4:                               ; =>This Loop Header: Depth=1
                                        ;     Child Loop BB17_7 Depth 2
                                        ;       Child Loop BB17_10 Depth 3
	s_wait_kmcnt 0x0
	global_load_b32 v5, v3, s[4:5] scale_offset
	s_mov_b32 s12, exec_lo
	s_wait_loadcnt 0x0
	v_subrev_nc_u32_e32 v6, s16, v5
	s_delay_alu instid0(VALU_DEP_1) | instskip(NEXT) | instid1(VALU_DEP_1)
	v_ashrrev_i32_e32 v7, 31, v6
	v_lshl_add_u64 v[6:7], v[6:7], 2, s[6:7]
	global_load_b64 v[6:7], v[6:7], off
	s_wait_loadcnt 0x0
	v_subrev_nc_u32_e32 v5, s17, v7
	v_add_nc_u32_e32 v6, v6, v4
	s_delay_alu instid0(VALU_DEP_1)
	v_cmpx_lt_i32_e64 v6, v5
	s_cbranch_execz .LBB17_3
; %bb.5:                                ;   in Loop: Header=BB17_4 Depth=1
	s_mov_b32 s13, 0
	s_branch .LBB17_7
.LBB17_6:                               ;   in Loop: Header=BB17_7 Depth=2
	s_or_b32 exec_lo, exec_lo, s14
	v_add_nc_u32_e32 v6, 64, v6
	s_delay_alu instid0(VALU_DEP_1) | instskip(SKIP_1) | instid1(SALU_CYCLE_1)
	v_cmp_ge_i32_e32 vcc_lo, v6, v5
	s_or_b32 s13, vcc_lo, s13
	s_and_not1_b32 exec_lo, exec_lo, s13
	s_cbranch_execz .LBB17_3
.LBB17_7:                               ;   Parent Loop BB17_4 Depth=1
                                        ; =>  This Loop Header: Depth=2
                                        ;       Child Loop BB17_10 Depth 3
	global_load_b32 v7, v6, s[2:3] scale_offset
	s_mov_b32 s14, 0
                                        ; implicit-def: $sgpr15
	s_wait_loadcnt 0x0
	v_subrev_nc_u32_e32 v7, s17, v7
	s_delay_alu instid0(VALU_DEP_1) | instskip(NEXT) | instid1(VALU_DEP_1)
	v_mul_lo_u32 v8, 0x89, v7
	v_and_b32_e32 v8, 0x1fff, v8
	s_branch .LBB17_10
.LBB17_8:                               ;   in Loop: Header=BB17_10 Depth=3
	s_or_b32 exec_lo, exec_lo, s22
	s_delay_alu instid0(SALU_CYCLE_1) | instskip(SKIP_1) | instid1(SALU_CYCLE_1)
	s_and_not1_b32 s15, s15, exec_lo
	s_and_b32 s22, s23, exec_lo
	s_or_b32 s15, s15, s22
.LBB17_9:                               ;   in Loop: Header=BB17_10 Depth=3
	s_or_b32 exec_lo, exec_lo, s21
	s_xor_b32 s21, s15, -1
	s_delay_alu instid0(SALU_CYCLE_1) | instskip(NEXT) | instid1(SALU_CYCLE_1)
	s_and_b32 s21, exec_lo, s21
	s_or_b32 s14, s21, s14
	s_delay_alu instid0(SALU_CYCLE_1)
	s_and_not1_b32 exec_lo, exec_lo, s14
	s_cbranch_execz .LBB17_6
.LBB17_10:                              ;   Parent Loop BB17_4 Depth=1
                                        ;     Parent Loop BB17_7 Depth=2
                                        ; =>    This Inner Loop Header: Depth=3
	s_delay_alu instid0(VALU_DEP_1)
	v_lshl_add_u32 v9, v8, 2, 0
	s_and_not1_b32 s15, s15, exec_lo
	s_mov_b32 s21, exec_lo
	ds_load_b32 v10, v9
	s_wait_dscnt 0x0
	v_cmpx_ne_u32_e64 v10, v7
	s_cbranch_execz .LBB17_9
; %bb.11:                               ;   in Loop: Header=BB17_10 Depth=3
	s_mov_b32 s22, exec_lo
	v_cmpx_ne_u32_e64 s24, v10
	s_xor_b32 s22, exec_lo, s22
; %bb.12:                               ;   in Loop: Header=BB17_10 Depth=3
	v_add_nc_u32_e32 v8, 1, v8
                                        ; implicit-def: $vgpr9
	s_delay_alu instid0(VALU_DEP_1)
	v_and_b32_e32 v8, 0x1fff, v8
; %bb.13:                               ;   in Loop: Header=BB17_10 Depth=3
	s_or_saveexec_b32 s22, s22
	s_mov_b32 s23, -1
	s_xor_b32 exec_lo, exec_lo, s22
	s_cbranch_execz .LBB17_8
; %bb.14:                               ;   in Loop: Header=BB17_10 Depth=3
	v_mov_b32_e32 v10, s24
	ds_cmpstore_rtn_b32 v9, v9, v7, v10
	s_wait_dscnt 0x0
	v_cmp_ne_u32_e32 vcc_lo, s24, v9
	s_or_not1_b32 s23, vcc_lo, exec_lo
	s_branch .LBB17_8
.LBB17_15:
	s_or_b32 exec_lo, exec_lo, s10
.LBB17_16:
	s_wait_kmcnt 0x0
	s_load_b64 s[16:17], s[0:1], 0x50
	s_bfe_u32 s2, s8, 0x10008
	s_delay_alu instid0(SALU_CYCLE_1)
	s_cmp_eq_u32 s2, 0
	s_cbranch_scc1 .LBB17_29
; %bb.17:
	s_load_b64 s[2:3], s[0:1], 0x38
	s_ashr_i32 s21, s20, 31
	v_subrev_nc_u32_e32 v3, s19, v0
	s_lshl_b64 s[4:5], s[20:21], 2
	s_wait_kmcnt 0x0
	s_add_nc_u64 s[2:3], s[2:3], s[4:5]
	s_load_b64 s[4:5], s[2:3], 0x0
	s_wait_kmcnt 0x0
	v_add_nc_u32_e32 v3, s4, v3
	s_sub_co_i32 s4, s5, s19
	s_mov_b32 s5, exec_lo
	s_delay_alu instid0(VALU_DEP_1)
	v_cmpx_gt_i32_e64 s4, v3
	s_cbranch_execz .LBB17_28
; %bb.18:
	s_load_b64 s[2:3], s[0:1], 0x40
	s_mov_b32 s6, 0
	s_branch .LBB17_20
.LBB17_19:                              ;   in Loop: Header=BB17_20 Depth=1
	s_or_b32 exec_lo, exec_lo, s7
	v_add_nc_u32_e32 v3, 0x400, v3
	s_delay_alu instid0(VALU_DEP_1) | instskip(SKIP_1) | instid1(SALU_CYCLE_1)
	v_cmp_le_i32_e32 vcc_lo, s4, v3
	s_or_b32 s6, vcc_lo, s6
	s_and_not1_b32 exec_lo, exec_lo, s6
	s_cbranch_execz .LBB17_28
.LBB17_20:                              ; =>This Loop Header: Depth=1
                                        ;     Child Loop BB17_23 Depth 2
	s_wait_kmcnt 0x0
	global_load_b32 v4, v3, s[2:3] scale_offset
	s_mov_b32 s7, 0
                                        ; implicit-def: $sgpr8
	s_wait_loadcnt 0x0
	v_subrev_nc_u32_e32 v4, s19, v4
	s_delay_alu instid0(VALU_DEP_1) | instskip(NEXT) | instid1(VALU_DEP_1)
	v_mul_lo_u32 v5, 0x89, v4
	v_and_b32_e32 v5, 0x1fff, v5
	s_branch .LBB17_23
.LBB17_21:                              ;   in Loop: Header=BB17_23 Depth=2
	s_or_b32 exec_lo, exec_lo, s10
	s_delay_alu instid0(SALU_CYCLE_1) | instskip(SKIP_1) | instid1(SALU_CYCLE_1)
	s_and_not1_b32 s8, s8, exec_lo
	s_and_b32 s10, s11, exec_lo
	s_or_b32 s8, s8, s10
.LBB17_22:                              ;   in Loop: Header=BB17_23 Depth=2
	s_or_b32 exec_lo, exec_lo, s9
	s_xor_b32 s9, s8, -1
	s_delay_alu instid0(SALU_CYCLE_1) | instskip(NEXT) | instid1(SALU_CYCLE_1)
	s_and_b32 s9, exec_lo, s9
	s_or_b32 s7, s9, s7
	s_delay_alu instid0(SALU_CYCLE_1)
	s_and_not1_b32 exec_lo, exec_lo, s7
	s_cbranch_execz .LBB17_19
.LBB17_23:                              ;   Parent Loop BB17_20 Depth=1
                                        ; =>  This Inner Loop Header: Depth=2
	s_delay_alu instid0(VALU_DEP_1)
	v_lshl_add_u32 v6, v5, 2, 0
	s_and_not1_b32 s8, s8, exec_lo
	s_mov_b32 s9, exec_lo
	ds_load_b32 v7, v6
	s_wait_dscnt 0x0
	v_cmpx_ne_u32_e64 v7, v4
	s_cbranch_execz .LBB17_22
; %bb.24:                               ;   in Loop: Header=BB17_23 Depth=2
	s_mov_b32 s10, exec_lo
	v_cmpx_ne_u32_e64 s24, v7
	s_xor_b32 s10, exec_lo, s10
; %bb.25:                               ;   in Loop: Header=BB17_23 Depth=2
	v_add_nc_u32_e32 v5, 1, v5
                                        ; implicit-def: $vgpr6
	s_delay_alu instid0(VALU_DEP_1)
	v_and_b32_e32 v5, 0x1fff, v5
; %bb.26:                               ;   in Loop: Header=BB17_23 Depth=2
	s_or_saveexec_b32 s10, s10
	s_mov_b32 s11, -1
	s_xor_b32 exec_lo, exec_lo, s10
	s_cbranch_execz .LBB17_21
; %bb.27:                               ;   in Loop: Header=BB17_23 Depth=2
	v_mov_b32_e32 v7, s24
	ds_cmpstore_rtn_b32 v6, v6, v4, v7
	s_wait_dscnt 0x0
	v_cmp_ne_u32_e32 vcc_lo, s24, v6
	s_or_not1_b32 s11, vcc_lo, exec_lo
	s_branch .LBB17_21
.LBB17_28:
	s_or_b32 exec_lo, exec_lo, s5
.LBB17_29:
	s_load_b64 s[22:23], s[0:1], 0x48
	v_mbcnt_lo_u32_b32 v5, -1, 0
	v_mov_b32_e32 v3, 0
	v_lshl_add_u32 v4, v2, 2, 0
	s_wait_xcnt 0x0
	v_cmp_lt_u32_e64 s0, 63, v0
	v_cmp_lt_u32_e64 s1, 0x7f, v0
	v_xor_b32_e32 v2, 31, v5
	v_cmp_lt_u32_e64 s2, 0xbf, v0
	v_cmp_lt_u32_e64 s3, 0xff, v0
	;; [unrolled: 1-line block ×4, first 2 shown]
	v_lshrrev_b32_e64 v2, v2, -1
	v_cmp_lt_u32_e64 s6, 0x1bf, v0
	v_cmp_lt_u32_e64 s7, 0x1ff, v0
	;; [unrolled: 1-line block ×9, first 2 shown]
	v_or_b32_e32 v5, 0xfffffc00, v0
	v_mov_b32_e32 v6, 0
	s_mov_b32 s19, 0
	v_cmp_eq_u32_e32 vcc_lo, 0x3ff, v0
	s_barrier_signal -1
	s_barrier_wait -1
	s_branch .LBB17_31
.LBB17_30:                              ;   in Loop: Header=BB17_31 Depth=1
	s_or_b32 exec_lo, exec_lo, s15
	s_wait_dscnt 0x0
	s_barrier_signal -1
	s_barrier_wait -1
	ds_load_b32 v7, v3 offset:32828
	v_add_nc_u32_e32 v5, 0x400, v5
	v_add_nc_u32_e32 v1, 0x1000, v1
	s_delay_alu instid0(VALU_DEP_2)
	v_cmp_lt_u32_e64 s15, 0x1bff, v5
	s_or_b32 s19, s15, s19
	s_wait_dscnt 0x0
	v_add_nc_u32_e32 v6, v7, v6
	s_and_not1_b32 exec_lo, exec_lo, s19
	s_cbranch_execz .LBB17_65
.LBB17_31:                              ; =>This Inner Loop Header: Depth=1
	ds_load_b32 v7, v1
	s_wait_dscnt 0x0
	s_barrier_signal -1
	s_barrier_wait -1
	v_cmp_gt_i32_e64 s15, s24, v7
	s_bcnt1_i32_b32 s21, s15
	s_delay_alu instid0(SALU_CYCLE_1) | instskip(NEXT) | instid1(VALU_DEP_1)
	v_dual_mov_b32 v9, s21 :: v_dual_bitop2_b32 v8, s15, v2 bitop3:0x40
	v_bcnt_u32_b32 v8, v8, 0
	ds_store_b32 v4, v9 offset:32768
	s_wait_dscnt 0x0
	s_barrier_signal -1
	s_barrier_wait -1
	s_and_saveexec_b32 s21, s0
	s_cbranch_execnz .LBB17_48
; %bb.32:                               ;   in Loop: Header=BB17_31 Depth=1
	s_or_b32 exec_lo, exec_lo, s21
	s_and_saveexec_b32 s21, s1
	s_cbranch_execnz .LBB17_49
.LBB17_33:                              ;   in Loop: Header=BB17_31 Depth=1
	s_or_b32 exec_lo, exec_lo, s21
	s_and_saveexec_b32 s21, s2
	s_cbranch_execnz .LBB17_50
.LBB17_34:                              ;   in Loop: Header=BB17_31 Depth=1
	s_or_b32 exec_lo, exec_lo, s21
	s_and_saveexec_b32 s21, s3
	s_cbranch_execnz .LBB17_51
.LBB17_35:                              ;   in Loop: Header=BB17_31 Depth=1
	s_or_b32 exec_lo, exec_lo, s21
	s_and_saveexec_b32 s21, s4
	s_cbranch_execnz .LBB17_52
.LBB17_36:                              ;   in Loop: Header=BB17_31 Depth=1
	s_or_b32 exec_lo, exec_lo, s21
	s_and_saveexec_b32 s21, s5
	s_cbranch_execnz .LBB17_53
.LBB17_37:                              ;   in Loop: Header=BB17_31 Depth=1
	s_or_b32 exec_lo, exec_lo, s21
	s_and_saveexec_b32 s21, s6
	s_cbranch_execnz .LBB17_54
.LBB17_38:                              ;   in Loop: Header=BB17_31 Depth=1
	s_or_b32 exec_lo, exec_lo, s21
	s_and_saveexec_b32 s21, s7
	s_cbranch_execnz .LBB17_55
.LBB17_39:                              ;   in Loop: Header=BB17_31 Depth=1
	s_or_b32 exec_lo, exec_lo, s21
	s_and_saveexec_b32 s21, s8
	s_cbranch_execnz .LBB17_56
.LBB17_40:                              ;   in Loop: Header=BB17_31 Depth=1
	s_or_b32 exec_lo, exec_lo, s21
	s_and_saveexec_b32 s21, s9
	s_cbranch_execnz .LBB17_57
.LBB17_41:                              ;   in Loop: Header=BB17_31 Depth=1
	s_or_b32 exec_lo, exec_lo, s21
	s_and_saveexec_b32 s21, s10
	s_cbranch_execnz .LBB17_58
.LBB17_42:                              ;   in Loop: Header=BB17_31 Depth=1
	s_or_b32 exec_lo, exec_lo, s21
	s_and_saveexec_b32 s21, s11
	s_cbranch_execnz .LBB17_59
.LBB17_43:                              ;   in Loop: Header=BB17_31 Depth=1
	s_or_b32 exec_lo, exec_lo, s21
	s_and_saveexec_b32 s21, s12
	s_cbranch_execnz .LBB17_60
.LBB17_44:                              ;   in Loop: Header=BB17_31 Depth=1
	s_or_b32 exec_lo, exec_lo, s21
	s_and_saveexec_b32 s21, s13
	s_cbranch_execnz .LBB17_61
.LBB17_45:                              ;   in Loop: Header=BB17_31 Depth=1
	s_or_b32 exec_lo, exec_lo, s21
	s_and_saveexec_b32 s21, s14
	s_cbranch_execnz .LBB17_62
.LBB17_46:                              ;   in Loop: Header=BB17_31 Depth=1
	s_or_b32 exec_lo, exec_lo, s21
	s_and_saveexec_b32 s21, s15
	s_cbranch_execnz .LBB17_63
.LBB17_47:                              ;   in Loop: Header=BB17_31 Depth=1
	s_or_b32 exec_lo, exec_lo, s21
	s_and_saveexec_b32 s15, vcc_lo
	s_cbranch_execz .LBB17_30
	s_branch .LBB17_64
.LBB17_48:                              ;   in Loop: Header=BB17_31 Depth=1
	ds_load_b32 v9, v3 offset:32768
	s_wait_dscnt 0x0
	v_add_nc_u32_e32 v8, v9, v8
	s_or_b32 exec_lo, exec_lo, s21
	s_and_saveexec_b32 s21, s1
	s_cbranch_execz .LBB17_33
.LBB17_49:                              ;   in Loop: Header=BB17_31 Depth=1
	ds_load_b32 v9, v3 offset:32772
	s_wait_dscnt 0x0
	v_add_nc_u32_e32 v8, v9, v8
	s_or_b32 exec_lo, exec_lo, s21
	s_and_saveexec_b32 s21, s2
	s_cbranch_execz .LBB17_34
.LBB17_50:                              ;   in Loop: Header=BB17_31 Depth=1
	ds_load_b32 v9, v3 offset:32776
	s_wait_dscnt 0x0
	v_add_nc_u32_e32 v8, v9, v8
	s_or_b32 exec_lo, exec_lo, s21
	s_and_saveexec_b32 s21, s3
	s_cbranch_execz .LBB17_35
.LBB17_51:                              ;   in Loop: Header=BB17_31 Depth=1
	ds_load_b32 v9, v3 offset:32780
	s_wait_dscnt 0x0
	v_add_nc_u32_e32 v8, v9, v8
	s_or_b32 exec_lo, exec_lo, s21
	s_and_saveexec_b32 s21, s4
	s_cbranch_execz .LBB17_36
.LBB17_52:                              ;   in Loop: Header=BB17_31 Depth=1
	ds_load_b32 v9, v3 offset:32784
	s_wait_dscnt 0x0
	v_add_nc_u32_e32 v8, v9, v8
	s_or_b32 exec_lo, exec_lo, s21
	s_and_saveexec_b32 s21, s5
	s_cbranch_execz .LBB17_37
.LBB17_53:                              ;   in Loop: Header=BB17_31 Depth=1
	ds_load_b32 v9, v3 offset:32788
	s_wait_dscnt 0x0
	v_add_nc_u32_e32 v8, v9, v8
	s_or_b32 exec_lo, exec_lo, s21
	s_and_saveexec_b32 s21, s6
	s_cbranch_execz .LBB17_38
.LBB17_54:                              ;   in Loop: Header=BB17_31 Depth=1
	ds_load_b32 v9, v3 offset:32792
	s_wait_dscnt 0x0
	v_add_nc_u32_e32 v8, v9, v8
	s_or_b32 exec_lo, exec_lo, s21
	s_and_saveexec_b32 s21, s7
	s_cbranch_execz .LBB17_39
.LBB17_55:                              ;   in Loop: Header=BB17_31 Depth=1
	ds_load_b32 v9, v3 offset:32796
	s_wait_dscnt 0x0
	v_add_nc_u32_e32 v8, v9, v8
	s_or_b32 exec_lo, exec_lo, s21
	s_and_saveexec_b32 s21, s8
	s_cbranch_execz .LBB17_40
.LBB17_56:                              ;   in Loop: Header=BB17_31 Depth=1
	ds_load_b32 v9, v3 offset:32800
	s_wait_dscnt 0x0
	v_add_nc_u32_e32 v8, v9, v8
	s_or_b32 exec_lo, exec_lo, s21
	s_and_saveexec_b32 s21, s9
	s_cbranch_execz .LBB17_41
.LBB17_57:                              ;   in Loop: Header=BB17_31 Depth=1
	ds_load_b32 v9, v3 offset:32804
	s_wait_dscnt 0x0
	v_add_nc_u32_e32 v8, v9, v8
	s_or_b32 exec_lo, exec_lo, s21
	s_and_saveexec_b32 s21, s10
	s_cbranch_execz .LBB17_42
.LBB17_58:                              ;   in Loop: Header=BB17_31 Depth=1
	ds_load_b32 v9, v3 offset:32808
	s_wait_dscnt 0x0
	v_add_nc_u32_e32 v8, v9, v8
	s_or_b32 exec_lo, exec_lo, s21
	s_and_saveexec_b32 s21, s11
	s_cbranch_execz .LBB17_43
.LBB17_59:                              ;   in Loop: Header=BB17_31 Depth=1
	ds_load_b32 v9, v3 offset:32812
	s_wait_dscnt 0x0
	v_add_nc_u32_e32 v8, v9, v8
	s_or_b32 exec_lo, exec_lo, s21
	s_and_saveexec_b32 s21, s12
	s_cbranch_execz .LBB17_44
.LBB17_60:                              ;   in Loop: Header=BB17_31 Depth=1
	ds_load_b32 v9, v3 offset:32816
	s_wait_dscnt 0x0
	v_add_nc_u32_e32 v8, v9, v8
	s_or_b32 exec_lo, exec_lo, s21
	s_and_saveexec_b32 s21, s13
	s_cbranch_execz .LBB17_45
.LBB17_61:                              ;   in Loop: Header=BB17_31 Depth=1
	ds_load_b32 v9, v3 offset:32820
	s_wait_dscnt 0x0
	v_add_nc_u32_e32 v8, v9, v8
	s_or_b32 exec_lo, exec_lo, s21
	s_and_saveexec_b32 s21, s14
	s_cbranch_execz .LBB17_46
.LBB17_62:                              ;   in Loop: Header=BB17_31 Depth=1
	ds_load_b32 v9, v3 offset:32824
	s_wait_dscnt 0x0
	v_add_nc_u32_e32 v8, v9, v8
	s_or_b32 exec_lo, exec_lo, s21
	s_and_saveexec_b32 s21, s15
	s_cbranch_execz .LBB17_47
.LBB17_63:                              ;   in Loop: Header=BB17_31 Depth=1
	s_delay_alu instid0(VALU_DEP_1) | instskip(NEXT) | instid1(VALU_DEP_1)
	v_dual_lshlrev_b32 v9, 2, v6 :: v_dual_lshlrev_b32 v10, 2, v8
	v_add_nc_u32_e32 v9, 0, v9
	s_delay_alu instid0(VALU_DEP_1)
	v_add3_u32 v9, v9, v10, -4
	ds_store_b32 v9, v7
	s_or_b32 exec_lo, exec_lo, s21
	s_and_saveexec_b32 s15, vcc_lo
	s_cbranch_execz .LBB17_30
.LBB17_64:                              ;   in Loop: Header=BB17_31 Depth=1
	ds_store_b32 v3, v8 offset:32828
	s_branch .LBB17_30
.LBB17_65:
	s_or_b32 exec_lo, exec_lo, s19
	s_ashr_i32 s21, s20, 31
	s_delay_alu instid0(SALU_CYCLE_1)
	s_lshl_b64 s[0:1], s[20:21], 2
	s_wait_kmcnt 0x0
	s_add_nc_u64 s[2:3], s[22:23], s[0:1]
	s_load_b64 s[0:1], s[2:3], 0x0
	s_wait_kmcnt 0x0
	s_sub_co_i32 s4, s1, s0
	s_mov_b32 s1, exec_lo
	v_cmpx_gt_i32_e64 s4, v0
	s_cbranch_execz .LBB17_79
; %bb.66:
	v_sub_co_u32 v1, s1, s4, 2
	s_sub_co_i32 s2, s0, s18
	s_xor_b32 s6, s1, -1
	s_and_b32 s5, s4, -2
	v_readfirstlane_b32 s3, v1
	s_lshr_b32 s0, s3, 1
	s_mov_b32 s3, 0
	s_add_co_i32 s0, s0, 1
	s_mov_b32 s11, s3
	s_and_b32 s1, s0, 7
	s_and_b32 s7, s0, -8
	s_cmp_lg_u32 s1, 0
	v_cmp_lt_u32_e64 s0, 13, v1
	s_cselect_b32 s8, -1, 0
	s_cmp_lg_u32 s4, s5
	s_cselect_b32 s9, -1, 0
	s_lshl_b32 s10, s1, 3
	s_branch .LBB17_68
.LBB17_67:                              ;   in Loop: Header=BB17_68 Depth=1
	v_add_nc_u32_e32 v0, 0x400, v0
	s_wait_dscnt 0x0
	v_add_nc_u32_e32 v1, s18, v1
	s_delay_alu instid0(VALU_DEP_2)
	v_cmp_le_i32_e32 vcc_lo, s4, v0
	global_store_b32 v2, v1, s[16:17] scale_offset
	s_or_b32 s11, vcc_lo, s11
	s_wait_xcnt 0x0
	s_and_not1_b32 exec_lo, exec_lo, s11
	s_cbranch_execz .LBB17_79
.LBB17_68:                              ; =>This Loop Header: Depth=1
                                        ;     Child Loop BB17_71 Depth 2
                                        ;     Child Loop BB17_74 Depth 2
	;; [unrolled: 1-line block ×3, first 2 shown]
	v_lshl_add_u32 v1, v0, 2, 0
	v_mov_b32_e32 v2, s2
	s_and_not1_b32 vcc_lo, exec_lo, s6
	s_mov_b32 s1, 0
	s_mov_b32 s12, -1
	ds_load_b32 v1, v1
	s_cbranch_vccnz .LBB17_76
; %bb.69:                               ;   in Loop: Header=BB17_68 Depth=1
	v_mov_b64_e32 v[2:3], s[2:3]
	s_and_not1_b32 vcc_lo, exec_lo, s0
	s_mov_b32 s12, 0
	s_cbranch_vccnz .LBB17_72
; %bb.70:                               ;   in Loop: Header=BB17_68 Depth=1
	v_dual_mov_b32 v2, s2 :: v_dual_mov_b32 v3, 0
	s_mov_b32 s13, 0
	s_mov_b32 s14, s7
.LBB17_71:                              ;   Parent Loop BB17_68 Depth=1
                                        ; =>  This Inner Loop Header: Depth=2
	v_mov_b32_e32 v18, s13
	s_add_co_i32 s14, s14, -8
	s_add_co_i32 s12, s12, 16
	s_add_co_i32 s13, s13, 64
	s_cmp_lg_u32 s14, 0
	ds_load_2addr_b32 v[4:5], v18 offset1:1
	ds_load_2addr_b32 v[6:7], v18 offset0:2 offset1:3
	ds_load_2addr_b32 v[8:9], v18 offset0:4 offset1:5
	;; [unrolled: 1-line block ×7, first 2 shown]
	s_wait_dscnt 0x7
	v_cmp_gt_i32_e32 vcc_lo, v1, v5
	s_wait_dscnt 0x5
	v_cmp_gt_i32_e64 s1, v1, v8
	v_cndmask_b32_e64 v5, 0, 1, vcc_lo
	v_cmp_gt_i32_e32 vcc_lo, v1, v4
	v_cndmask_b32_e64 v4, 0, 1, vcc_lo
	v_cmp_gt_i32_e32 vcc_lo, v1, v6
	v_cndmask_b32_e64 v6, 0, 1, s1
	v_cmp_gt_i32_e64 s1, v1, v9
	s_delay_alu instid0(VALU_DEP_4) | instskip(NEXT) | instid1(VALU_DEP_2)
	v_add_co_ci_u32_e64 v2, null, v2, v4, vcc_lo
	v_cndmask_b32_e64 v8, 0, 1, s1
	s_wait_dscnt 0x4
	v_cmp_gt_i32_e64 s1, v1, v11
	s_wait_dscnt 0x2
	v_cmp_gt_i32_e32 vcc_lo, v1, v14
	s_delay_alu instid0(VALU_DEP_2) | instskip(SKIP_4) | instid1(VALU_DEP_3)
	v_cndmask_b32_e64 v9, 0, 1, s1
	v_cmp_gt_i32_e64 s1, v1, v10
	v_add_co_ci_u32_e64 v2, null, v2, v6, vcc_lo
	s_wait_dscnt 0x1
	v_cmp_gt_i32_e32 vcc_lo, v1, v16
	v_cndmask_b32_e64 v10, 0, 1, s1
	v_cmp_gt_i32_e64 s1, v1, v12
	s_delay_alu instid0(VALU_DEP_2) | instskip(NEXT) | instid1(VALU_DEP_2)
	v_add_co_ci_u32_e64 v2, null, v2, v10, vcc_lo
	v_cndmask_b32_e64 v11, 0, 1, s1
	v_cmp_gt_i32_e64 s1, v1, v13
	s_wait_dscnt 0x0
	v_cmp_gt_i32_e32 vcc_lo, v1, v18
	s_delay_alu instid0(VALU_DEP_2) | instskip(SKIP_2) | instid1(VALU_DEP_2)
	v_cndmask_b32_e64 v12, 0, 1, s1
	v_cmp_gt_i32_e64 s1, v1, v7
	v_add_co_ci_u32_e64 v2, null, v2, v11, vcc_lo
	v_add_co_ci_u32_e64 v3, null, v3, v5, s1
	v_cmp_gt_i32_e64 s1, v1, v15
	s_delay_alu instid0(VALU_DEP_1) | instskip(SKIP_1) | instid1(VALU_DEP_1)
	v_add_co_ci_u32_e64 v3, null, v3, v8, s1
	v_cmp_gt_i32_e64 s1, v1, v17
	v_add_co_ci_u32_e64 v3, null, v3, v9, s1
	v_cmp_gt_i32_e64 s1, v1, v19
	s_delay_alu instid0(VALU_DEP_1)
	v_add_co_ci_u32_e64 v3, null, v3, v12, s1
	s_cbranch_scc1 .LBB17_71
.LBB17_72:                              ;   in Loop: Header=BB17_68 Depth=1
	s_and_not1_b32 vcc_lo, exec_lo, s8
	s_cbranch_vccnz .LBB17_75
; %bb.73:                               ;   in Loop: Header=BB17_68 Depth=1
	s_lshl_b32 s1, s12, 2
	s_mov_b32 s12, s10
	s_add_co_i32 s1, s1, 0
.LBB17_74:                              ;   Parent Loop BB17_68 Depth=1
                                        ; =>  This Inner Loop Header: Depth=2
	s_delay_alu instid0(SALU_CYCLE_1)
	v_mov_b32_e32 v4, s1
	s_add_co_i32 s12, s12, -8
	s_add_co_i32 s1, s1, 8
	s_cmp_lg_u32 s12, 0
	ds_load_2addr_b32 v[4:5], v4 offset1:1
	s_wait_dscnt 0x0
	v_cmp_gt_i32_e32 vcc_lo, v1, v5
	v_add_co_ci_u32_e64 v3, null, 0, v3, vcc_lo
	v_cmp_gt_i32_e32 vcc_lo, v1, v4
	v_add_co_ci_u32_e64 v2, null, 0, v2, vcc_lo
	s_cbranch_scc1 .LBB17_74
.LBB17_75:                              ;   in Loop: Header=BB17_68 Depth=1
	s_delay_alu instid0(VALU_DEP_1)
	v_add_nc_u32_e32 v2, v2, v3
	s_mov_b32 s1, s5
	s_mov_b32 s12, s9
.LBB17_76:                              ;   in Loop: Header=BB17_68 Depth=1
	s_delay_alu instid0(SALU_CYCLE_1)
	s_and_b32 vcc_lo, exec_lo, s12
	s_cbranch_vccz .LBB17_67
; %bb.77:                               ;   in Loop: Header=BB17_68 Depth=1
	s_lshl_b32 s12, s1, 2
	s_delay_alu instid0(SALU_CYCLE_1)
	s_add_co_i32 s12, s12, 0
.LBB17_78:                              ;   Parent Loop BB17_68 Depth=1
                                        ; =>  This Inner Loop Header: Depth=2
	s_delay_alu instid0(SALU_CYCLE_1)
	v_mov_b32_e32 v3, s12
	s_add_co_i32 s1, s1, 1
	s_add_co_i32 s12, s12, 4
	s_cmp_ge_i32 s1, s4
	ds_load_b32 v3, v3
	s_wait_dscnt 0x0
	v_cmp_gt_i32_e32 vcc_lo, v1, v3
	v_add_co_ci_u32_e64 v2, null, 0, v2, vcc_lo
	s_cbranch_scc0 .LBB17_78
	s_branch .LBB17_67
.LBB17_79:
	s_endpgm
	.section	.rodata,"a",@progbits
	.p2align	6, 0x0
	.amdhsa_kernel _ZN9rocsparseL35csrgemm_symbolic_fill_block_per_rowILj1024ELj64ELj8192ELj137ELj64EiiEEvT5_PKS1_S3_PKT4_S3_S6_S3_S6_S3_S6_PS1_21rocsparse_index_base_S8_S8_S8_bb
		.amdhsa_group_segment_fixed_size 0
		.amdhsa_private_segment_fixed_size 0
		.amdhsa_kernarg_size 108
		.amdhsa_user_sgpr_count 2
		.amdhsa_user_sgpr_dispatch_ptr 0
		.amdhsa_user_sgpr_queue_ptr 0
		.amdhsa_user_sgpr_kernarg_segment_ptr 1
		.amdhsa_user_sgpr_dispatch_id 0
		.amdhsa_user_sgpr_kernarg_preload_length 0
		.amdhsa_user_sgpr_kernarg_preload_offset 0
		.amdhsa_user_sgpr_private_segment_size 0
		.amdhsa_wavefront_size32 1
		.amdhsa_uses_dynamic_stack 0
		.amdhsa_enable_private_segment 0
		.amdhsa_system_sgpr_workgroup_id_x 1
		.amdhsa_system_sgpr_workgroup_id_y 0
		.amdhsa_system_sgpr_workgroup_id_z 0
		.amdhsa_system_sgpr_workgroup_info 0
		.amdhsa_system_vgpr_workitem_id 0
		.amdhsa_next_free_vgpr 20
		.amdhsa_next_free_sgpr 25
		.amdhsa_named_barrier_count 0
		.amdhsa_reserve_vcc 1
		.amdhsa_float_round_mode_32 0
		.amdhsa_float_round_mode_16_64 0
		.amdhsa_float_denorm_mode_32 3
		.amdhsa_float_denorm_mode_16_64 3
		.amdhsa_fp16_overflow 0
		.amdhsa_memory_ordered 1
		.amdhsa_forward_progress 1
		.amdhsa_inst_pref_size 24
		.amdhsa_round_robin_scheduling 0
		.amdhsa_exception_fp_ieee_invalid_op 0
		.amdhsa_exception_fp_denorm_src 0
		.amdhsa_exception_fp_ieee_div_zero 0
		.amdhsa_exception_fp_ieee_overflow 0
		.amdhsa_exception_fp_ieee_underflow 0
		.amdhsa_exception_fp_ieee_inexact 0
		.amdhsa_exception_int_div_zero 0
	.end_amdhsa_kernel
	.section	.text._ZN9rocsparseL35csrgemm_symbolic_fill_block_per_rowILj1024ELj64ELj8192ELj137ELj64EiiEEvT5_PKS1_S3_PKT4_S3_S6_S3_S6_S3_S6_PS1_21rocsparse_index_base_S8_S8_S8_bb,"axG",@progbits,_ZN9rocsparseL35csrgemm_symbolic_fill_block_per_rowILj1024ELj64ELj8192ELj137ELj64EiiEEvT5_PKS1_S3_PKT4_S3_S6_S3_S6_S3_S6_PS1_21rocsparse_index_base_S8_S8_S8_bb,comdat
.Lfunc_end17:
	.size	_ZN9rocsparseL35csrgemm_symbolic_fill_block_per_rowILj1024ELj64ELj8192ELj137ELj64EiiEEvT5_PKS1_S3_PKT4_S3_S6_S3_S6_S3_S6_PS1_21rocsparse_index_base_S8_S8_S8_bb, .Lfunc_end17-_ZN9rocsparseL35csrgemm_symbolic_fill_block_per_rowILj1024ELj64ELj8192ELj137ELj64EiiEEvT5_PKS1_S3_PKT4_S3_S6_S3_S6_S3_S6_PS1_21rocsparse_index_base_S8_S8_S8_bb
                                        ; -- End function
	.set _ZN9rocsparseL35csrgemm_symbolic_fill_block_per_rowILj1024ELj64ELj8192ELj137ELj64EiiEEvT5_PKS1_S3_PKT4_S3_S6_S3_S6_S3_S6_PS1_21rocsparse_index_base_S8_S8_S8_bb.num_vgpr, 20
	.set _ZN9rocsparseL35csrgemm_symbolic_fill_block_per_rowILj1024ELj64ELj8192ELj137ELj64EiiEEvT5_PKS1_S3_PKT4_S3_S6_S3_S6_S3_S6_PS1_21rocsparse_index_base_S8_S8_S8_bb.num_agpr, 0
	.set _ZN9rocsparseL35csrgemm_symbolic_fill_block_per_rowILj1024ELj64ELj8192ELj137ELj64EiiEEvT5_PKS1_S3_PKT4_S3_S6_S3_S6_S3_S6_PS1_21rocsparse_index_base_S8_S8_S8_bb.numbered_sgpr, 25
	.set _ZN9rocsparseL35csrgemm_symbolic_fill_block_per_rowILj1024ELj64ELj8192ELj137ELj64EiiEEvT5_PKS1_S3_PKT4_S3_S6_S3_S6_S3_S6_PS1_21rocsparse_index_base_S8_S8_S8_bb.num_named_barrier, 0
	.set _ZN9rocsparseL35csrgemm_symbolic_fill_block_per_rowILj1024ELj64ELj8192ELj137ELj64EiiEEvT5_PKS1_S3_PKT4_S3_S6_S3_S6_S3_S6_PS1_21rocsparse_index_base_S8_S8_S8_bb.private_seg_size, 0
	.set _ZN9rocsparseL35csrgemm_symbolic_fill_block_per_rowILj1024ELj64ELj8192ELj137ELj64EiiEEvT5_PKS1_S3_PKT4_S3_S6_S3_S6_S3_S6_PS1_21rocsparse_index_base_S8_S8_S8_bb.uses_vcc, 1
	.set _ZN9rocsparseL35csrgemm_symbolic_fill_block_per_rowILj1024ELj64ELj8192ELj137ELj64EiiEEvT5_PKS1_S3_PKT4_S3_S6_S3_S6_S3_S6_PS1_21rocsparse_index_base_S8_S8_S8_bb.uses_flat_scratch, 0
	.set _ZN9rocsparseL35csrgemm_symbolic_fill_block_per_rowILj1024ELj64ELj8192ELj137ELj64EiiEEvT5_PKS1_S3_PKT4_S3_S6_S3_S6_S3_S6_PS1_21rocsparse_index_base_S8_S8_S8_bb.has_dyn_sized_stack, 0
	.set _ZN9rocsparseL35csrgemm_symbolic_fill_block_per_rowILj1024ELj64ELj8192ELj137ELj64EiiEEvT5_PKS1_S3_PKT4_S3_S6_S3_S6_S3_S6_PS1_21rocsparse_index_base_S8_S8_S8_bb.has_recursion, 0
	.set _ZN9rocsparseL35csrgemm_symbolic_fill_block_per_rowILj1024ELj64ELj8192ELj137ELj64EiiEEvT5_PKS1_S3_PKT4_S3_S6_S3_S6_S3_S6_PS1_21rocsparse_index_base_S8_S8_S8_bb.has_indirect_call, 0
	.section	.AMDGPU.csdata,"",@progbits
; Kernel info:
; codeLenInByte = 2968
; TotalNumSgprs: 27
; NumVgprs: 20
; ScratchSize: 0
; MemoryBound: 0
; FloatMode: 240
; IeeeMode: 1
; LDSByteSize: 0 bytes/workgroup (compile time only)
; SGPRBlocks: 0
; VGPRBlocks: 1
; NumSGPRsForWavesPerEU: 27
; NumVGPRsForWavesPerEU: 20
; NamedBarCnt: 0
; Occupancy: 16
; WaveLimiterHint : 1
; COMPUTE_PGM_RSRC2:SCRATCH_EN: 0
; COMPUTE_PGM_RSRC2:USER_SGPR: 2
; COMPUTE_PGM_RSRC2:TRAP_HANDLER: 0
; COMPUTE_PGM_RSRC2:TGID_X_EN: 1
; COMPUTE_PGM_RSRC2:TGID_Y_EN: 0
; COMPUTE_PGM_RSRC2:TGID_Z_EN: 0
; COMPUTE_PGM_RSRC2:TIDIG_COMP_CNT: 0
	.section	.text._ZN9rocsparseL35csrgemm_symbolic_fill_block_per_rowILj1024ELj64ELj16384ELj137ELj32EiiEEvT5_PKS1_S3_PKT4_S3_S6_S3_S6_S3_S6_PS1_21rocsparse_index_base_S8_S8_S8_bb,"axG",@progbits,_ZN9rocsparseL35csrgemm_symbolic_fill_block_per_rowILj1024ELj64ELj16384ELj137ELj32EiiEEvT5_PKS1_S3_PKT4_S3_S6_S3_S6_S3_S6_PS1_21rocsparse_index_base_S8_S8_S8_bb,comdat
	.globl	_ZN9rocsparseL35csrgemm_symbolic_fill_block_per_rowILj1024ELj64ELj16384ELj137ELj32EiiEEvT5_PKS1_S3_PKT4_S3_S6_S3_S6_S3_S6_PS1_21rocsparse_index_base_S8_S8_S8_bb ; -- Begin function _ZN9rocsparseL35csrgemm_symbolic_fill_block_per_rowILj1024ELj64ELj16384ELj137ELj32EiiEEvT5_PKS1_S3_PKT4_S3_S6_S3_S6_S3_S6_PS1_21rocsparse_index_base_S8_S8_S8_bb
	.p2align	8
	.type	_ZN9rocsparseL35csrgemm_symbolic_fill_block_per_rowILj1024ELj64ELj16384ELj137ELj32EiiEEvT5_PKS1_S3_PKT4_S3_S6_S3_S6_S3_S6_PS1_21rocsparse_index_base_S8_S8_S8_bb,@function
_ZN9rocsparseL35csrgemm_symbolic_fill_block_per_rowILj1024ELj64ELj16384ELj137ELj32EiiEEvT5_PKS1_S3_PKT4_S3_S6_S3_S6_S3_S6_PS1_21rocsparse_index_base_S8_S8_S8_bb: ; @_ZN9rocsparseL35csrgemm_symbolic_fill_block_per_rowILj1024ELj64ELj16384ELj137ELj32EiiEEvT5_PKS1_S3_PKT4_S3_S6_S3_S6_S3_S6_PS1_21rocsparse_index_base_S8_S8_S8_bb
; %bb.0:
	s_clause 0x3
	s_load_b32 s33, s[0:1], 0x0
	s_load_b128 s[36:39], s[0:1], 0x48
	s_load_b256 s[4:11], s[0:1], 0x28
	s_load_b256 s[12:19], s[0:1], 0x8
	v_lshl_add_u32 v1, v0, 2, 0
	v_or_b32_e32 v3, 0xfffffc00, v0
	s_mov_b32 s2, 0
	s_delay_alu instid0(VALU_DEP_1)
	v_dual_mov_b32 v2, v1 :: v_dual_mov_b32 v5, v3
	s_wait_kmcnt 0x0
	v_mov_b32_e32 v4, s33
.LBB18_1:                               ; =>This Inner Loop Header: Depth=1
	s_delay_alu instid0(VALU_DEP_2) | instskip(SKIP_4) | instid1(SALU_CYCLE_1)
	v_add_nc_u32_e32 v5, 0x400, v5
	ds_store_b32 v2, v4
	v_add_nc_u32_e32 v2, 0x1000, v2
	v_cmp_lt_u32_e32 vcc_lo, 0x3bff, v5
	s_or_b32 s2, vcc_lo, s2
	s_and_not1_b32 exec_lo, exec_lo, s2
	s_cbranch_execnz .LBB18_1
; %bb.2:
	s_or_b32 exec_lo, exec_lo, s2
	s_load_b32 s2, s[0:1], 0x68
	s_wait_dscnt 0x0
	s_barrier_signal -1
	s_barrier_wait -1
	s_load_b32 s3, s[12:13], 0x0
	s_getreg_b32 s21, hwreg(HW_REG_IB_STS2, 6, 4)
	s_wait_kmcnt 0x0
	s_bitcmp1_b32 s2, 0
	s_cselect_b32 s12, -1, 0
	s_bfe_u32 s13, ttmp6, 0x4000c
	s_and_b32 s20, ttmp6, 15
	s_add_co_i32 s13, s13, 1
	s_delay_alu instid0(SALU_CYCLE_1) | instskip(NEXT) | instid1(SALU_CYCLE_1)
	s_mul_i32 s13, ttmp9, s13
	s_add_co_i32 s20, s20, s13
	s_cmp_eq_u32 s21, 0
	s_cselect_b32 s13, ttmp9, s20
	s_and_b32 vcc_lo, exec_lo, s12
	s_add_co_i32 s3, s3, s13
	s_load_b128 s[40:43], s[0:1], 0x58
	s_load_b32 s34, s[14:15], s3 offset:0x0 scale_offset
	s_cbranch_vccz .LBB18_18
; %bb.3:
	s_wait_kmcnt 0x0
	s_ashr_i32 s35, s34, 31
	v_lshrrev_b32_e32 v2, 6, v0
	s_lshl_b64 s[0:1], s[34:35], 2
	s_delay_alu instid0(SALU_CYCLE_1) | instskip(NEXT) | instid1(VALU_DEP_1)
	s_add_nc_u64 s[0:1], s[16:17], s[0:1]
	v_subrev_nc_u32_e32 v2, s40, v2
	s_load_b64 s[12:13], s[0:1], 0x0
	s_wait_xcnt 0x0
	s_mov_b32 s1, exec_lo
	s_wait_kmcnt 0x0
	v_add_nc_u32_e32 v2, s12, v2
	s_sub_co_i32 s0, s13, s40
	s_delay_alu instid0(VALU_DEP_1) | instid1(SALU_CYCLE_1)
	v_cmpx_gt_i32_e64 s0, v2
	s_cbranch_execz .LBB18_17
; %bb.4:
	v_and_b32_e32 v4, 63, v0
	s_mov_b32 s3, 0
	s_delay_alu instid0(VALU_DEP_1)
	v_subrev_nc_u32_e32 v4, s41, v4
	s_branch .LBB18_6
.LBB18_5:                               ;   in Loop: Header=BB18_6 Depth=1
	s_or_b32 exec_lo, exec_lo, s12
	v_add_nc_u32_e32 v2, 16, v2
	s_delay_alu instid0(VALU_DEP_1) | instskip(SKIP_1) | instid1(SALU_CYCLE_1)
	v_cmp_le_i32_e32 vcc_lo, s0, v2
	s_or_b32 s3, vcc_lo, s3
	s_and_not1_b32 exec_lo, exec_lo, s3
	s_cbranch_execz .LBB18_17
.LBB18_6:                               ; =>This Loop Header: Depth=1
                                        ;     Child Loop BB18_9 Depth 2
                                        ;       Child Loop BB18_12 Depth 3
	global_load_b32 v5, v2, s[18:19] scale_offset
	s_mov_b32 s12, exec_lo
	s_wait_loadcnt 0x0
	v_subrev_nc_u32_e32 v6, s40, v5
	s_delay_alu instid0(VALU_DEP_1) | instskip(NEXT) | instid1(VALU_DEP_1)
	v_ashrrev_i32_e32 v7, 31, v6
	v_lshl_add_u64 v[6:7], v[6:7], 2, s[4:5]
	global_load_b64 v[6:7], v[6:7], off
	s_wait_loadcnt 0x0
	v_subrev_nc_u32_e32 v5, s41, v7
	v_add_nc_u32_e32 v6, v6, v4
	s_delay_alu instid0(VALU_DEP_1)
	v_cmpx_lt_i32_e64 v6, v5
	s_cbranch_execz .LBB18_5
; %bb.7:                                ;   in Loop: Header=BB18_6 Depth=1
	s_mov_b32 s13, 0
	s_branch .LBB18_9
.LBB18_8:                               ;   in Loop: Header=BB18_9 Depth=2
	s_or_b32 exec_lo, exec_lo, s14
	v_add_nc_u32_e32 v6, 64, v6
	s_delay_alu instid0(VALU_DEP_1) | instskip(SKIP_1) | instid1(SALU_CYCLE_1)
	v_cmp_ge_i32_e32 vcc_lo, v6, v5
	s_or_b32 s13, vcc_lo, s13
	s_and_not1_b32 exec_lo, exec_lo, s13
	s_cbranch_execz .LBB18_5
.LBB18_9:                               ;   Parent Loop BB18_6 Depth=1
                                        ; =>  This Loop Header: Depth=2
                                        ;       Child Loop BB18_12 Depth 3
	global_load_b32 v7, v6, s[6:7] scale_offset
	s_mov_b32 s14, 0
                                        ; implicit-def: $sgpr15
	s_wait_loadcnt 0x0
	v_subrev_nc_u32_e32 v7, s41, v7
	s_delay_alu instid0(VALU_DEP_1) | instskip(NEXT) | instid1(VALU_DEP_1)
	v_mul_lo_u32 v8, 0x89, v7
	v_and_b32_e32 v8, 0x3fff, v8
	s_branch .LBB18_12
.LBB18_10:                              ;   in Loop: Header=BB18_12 Depth=3
	s_or_b32 exec_lo, exec_lo, s17
	s_delay_alu instid0(SALU_CYCLE_1) | instskip(SKIP_1) | instid1(SALU_CYCLE_1)
	s_and_not1_b32 s15, s15, exec_lo
	s_and_b32 s17, s20, exec_lo
	s_or_b32 s15, s15, s17
.LBB18_11:                              ;   in Loop: Header=BB18_12 Depth=3
	s_or_b32 exec_lo, exec_lo, s16
	s_xor_b32 s16, s15, -1
	s_delay_alu instid0(SALU_CYCLE_1) | instskip(NEXT) | instid1(SALU_CYCLE_1)
	s_and_b32 s16, exec_lo, s16
	s_or_b32 s14, s16, s14
	s_delay_alu instid0(SALU_CYCLE_1)
	s_and_not1_b32 exec_lo, exec_lo, s14
	s_cbranch_execz .LBB18_8
.LBB18_12:                              ;   Parent Loop BB18_6 Depth=1
                                        ;     Parent Loop BB18_9 Depth=2
                                        ; =>    This Inner Loop Header: Depth=3
	s_delay_alu instid0(VALU_DEP_1)
	v_lshl_add_u32 v9, v8, 2, 0
	s_and_not1_b32 s15, s15, exec_lo
	s_mov_b32 s16, exec_lo
	ds_load_b32 v10, v9
	s_wait_dscnt 0x0
	v_cmpx_ne_u32_e64 v10, v7
	s_cbranch_execz .LBB18_11
; %bb.13:                               ;   in Loop: Header=BB18_12 Depth=3
	s_mov_b32 s17, exec_lo
	v_cmpx_ne_u32_e64 s33, v10
	s_xor_b32 s17, exec_lo, s17
; %bb.14:                               ;   in Loop: Header=BB18_12 Depth=3
	v_add_nc_u32_e32 v8, 1, v8
                                        ; implicit-def: $vgpr9
	s_delay_alu instid0(VALU_DEP_1)
	v_and_b32_e32 v8, 0x3fff, v8
; %bb.15:                               ;   in Loop: Header=BB18_12 Depth=3
	s_or_saveexec_b32 s17, s17
	s_mov_b32 s20, -1
	s_xor_b32 exec_lo, exec_lo, s17
	s_cbranch_execz .LBB18_10
; %bb.16:                               ;   in Loop: Header=BB18_12 Depth=3
	v_mov_b32_e32 v10, s33
	ds_cmpstore_rtn_b32 v9, v9, v7, v10
	s_wait_dscnt 0x0
	v_cmp_ne_u32_e32 vcc_lo, s33, v9
	s_or_not1_b32 s20, vcc_lo, exec_lo
	s_branch .LBB18_10
.LBB18_17:
	s_or_b32 exec_lo, exec_lo, s1
.LBB18_18:
	s_wait_xcnt 0x0
	s_bfe_u32 s0, s2, 0x10008
	s_delay_alu instid0(SALU_CYCLE_1)
	s_cmp_eq_u32 s0, 0
	s_cbranch_scc1 .LBB18_31
; %bb.19:
	s_wait_kmcnt 0x0
	s_ashr_i32 s35, s34, 31
	v_subrev_nc_u32_e32 v2, s43, v0
	s_lshl_b64 s[0:1], s[34:35], 2
	s_delay_alu instid0(SALU_CYCLE_1)
	s_add_nc_u64 s[0:1], s[8:9], s[0:1]
	s_load_b64 s[2:3], s[0:1], 0x0
	s_wait_xcnt 0x0
	s_mov_b32 s1, exec_lo
	s_wait_kmcnt 0x0
	v_add_nc_u32_e32 v2, s2, v2
	s_sub_co_i32 s0, s3, s43
	s_delay_alu instid0(VALU_DEP_1) | instid1(SALU_CYCLE_1)
	v_cmpx_gt_i32_e64 s0, v2
	s_cbranch_execz .LBB18_30
; %bb.20:
	s_mov_b32 s2, 0
	s_branch .LBB18_22
.LBB18_21:                              ;   in Loop: Header=BB18_22 Depth=1
	s_or_b32 exec_lo, exec_lo, s3
	v_add_nc_u32_e32 v2, 0x400, v2
	s_delay_alu instid0(VALU_DEP_1) | instskip(SKIP_1) | instid1(SALU_CYCLE_1)
	v_cmp_le_i32_e32 vcc_lo, s0, v2
	s_or_b32 s2, vcc_lo, s2
	s_and_not1_b32 exec_lo, exec_lo, s2
	s_cbranch_execz .LBB18_30
.LBB18_22:                              ; =>This Loop Header: Depth=1
                                        ;     Child Loop BB18_25 Depth 2
	global_load_b32 v4, v2, s[10:11] scale_offset
	s_mov_b32 s3, 0
                                        ; implicit-def: $sgpr4
	s_wait_loadcnt 0x0
	v_subrev_nc_u32_e32 v4, s43, v4
	s_delay_alu instid0(VALU_DEP_1) | instskip(NEXT) | instid1(VALU_DEP_1)
	v_mul_lo_u32 v5, 0x89, v4
	v_and_b32_e32 v5, 0x3fff, v5
	s_branch .LBB18_25
.LBB18_23:                              ;   in Loop: Header=BB18_25 Depth=2
	s_or_b32 exec_lo, exec_lo, s6
	s_delay_alu instid0(SALU_CYCLE_1) | instskip(SKIP_1) | instid1(SALU_CYCLE_1)
	s_and_not1_b32 s4, s4, exec_lo
	s_and_b32 s6, s7, exec_lo
	s_or_b32 s4, s4, s6
.LBB18_24:                              ;   in Loop: Header=BB18_25 Depth=2
	s_or_b32 exec_lo, exec_lo, s5
	s_xor_b32 s5, s4, -1
	s_delay_alu instid0(SALU_CYCLE_1) | instskip(NEXT) | instid1(SALU_CYCLE_1)
	s_and_b32 s5, exec_lo, s5
	s_or_b32 s3, s5, s3
	s_delay_alu instid0(SALU_CYCLE_1)
	s_and_not1_b32 exec_lo, exec_lo, s3
	s_cbranch_execz .LBB18_21
.LBB18_25:                              ;   Parent Loop BB18_22 Depth=1
                                        ; =>  This Inner Loop Header: Depth=2
	s_delay_alu instid0(VALU_DEP_1)
	v_lshl_add_u32 v6, v5, 2, 0
	s_and_not1_b32 s4, s4, exec_lo
	s_mov_b32 s5, exec_lo
	ds_load_b32 v7, v6
	s_wait_dscnt 0x0
	v_cmpx_ne_u32_e64 v7, v4
	s_cbranch_execz .LBB18_24
; %bb.26:                               ;   in Loop: Header=BB18_25 Depth=2
	s_mov_b32 s6, exec_lo
	v_cmpx_ne_u32_e64 s33, v7
	s_xor_b32 s6, exec_lo, s6
; %bb.27:                               ;   in Loop: Header=BB18_25 Depth=2
	v_add_nc_u32_e32 v5, 1, v5
                                        ; implicit-def: $vgpr6
	s_delay_alu instid0(VALU_DEP_1)
	v_and_b32_e32 v5, 0x3fff, v5
; %bb.28:                               ;   in Loop: Header=BB18_25 Depth=2
	s_or_saveexec_b32 s6, s6
	s_mov_b32 s7, -1
	s_xor_b32 exec_lo, exec_lo, s6
	s_cbranch_execz .LBB18_23
; %bb.29:                               ;   in Loop: Header=BB18_25 Depth=2
	v_mov_b32_e32 v7, s33
	ds_cmpstore_rtn_b32 v6, v6, v4, v7
	s_wait_dscnt 0x0
	v_cmp_ne_u32_e32 vcc_lo, s33, v6
	s_or_not1_b32 s7, vcc_lo, exec_lo
	s_branch .LBB18_23
.LBB18_30:
	s_or_b32 exec_lo, exec_lo, s1
.LBB18_31:
	v_mbcnt_lo_u32_b32 v2, -1, 0
	v_lshrrev_b32_e32 v4, 3, v0
	v_cmp_lt_u32_e64 s0, 31, v0
	v_cmp_lt_u32_e64 s1, 63, v0
	;; [unrolled: 1-line block ×3, first 2 shown]
	v_xor_b32_e32 v2, 31, v2
	v_and_b32_e32 v5, 0x7c, v4
	v_mov_b32_e32 v4, 0
	v_cmp_lt_u32_e64 s3, 0x7f, v0
	v_cmp_lt_u32_e64 s4, 0x9f, v0
	v_lshrrev_b32_e64 v2, v2, -1
	v_add3_u32 v5, 0x10000, 0, v5
	v_cmp_lt_u32_e64 s5, 0xbf, v0
	v_cmp_lt_u32_e64 s6, 0xdf, v0
	;; [unrolled: 1-line block ×26, first 2 shown]
	s_mov_b32 s35, 0
	s_wait_kmcnt 0x0
	s_add_co_i32 s40, 0, 0x10000
	s_add_co_i32 s41, 0, 0x10004
	;; [unrolled: 1-line block ×32, first 2 shown]
	s_barrier_signal -1
	s_barrier_wait -1
	v_cmp_eq_u32_e32 vcc_lo, 0x3ff, v0
	s_branch .LBB18_33
.LBB18_32:                              ;   in Loop: Header=BB18_33 Depth=1
	s_or_b32 exec_lo, exec_lo, s31
	v_dual_mov_b32 v6, s72 :: v_dual_add_nc_u32 v3, 0x400, v3
	s_wait_dscnt 0x0
	s_barrier_signal -1
	s_barrier_wait -1
	ds_load_b32 v6, v6
	v_cmp_lt_u32_e64 s31, 0x3bff, v3
	v_add_nc_u32_e32 v1, 0x1000, v1
	s_or_b32 s35, s31, s35
	s_wait_dscnt 0x0
	v_add_nc_u32_e32 v4, v6, v4
	s_and_not1_b32 exec_lo, exec_lo, s35
	s_cbranch_execz .LBB18_99
.LBB18_33:                              ; =>This Inner Loop Header: Depth=1
	ds_load_b32 v6, v1
	s_wait_dscnt 0x0
	s_barrier_signal -1
	s_barrier_wait -1
	v_cmp_gt_i32_e64 s31, s33, v6
	s_bcnt1_i32_b32 s73, s31
	s_delay_alu instid0(SALU_CYCLE_1) | instskip(NEXT) | instid1(VALU_DEP_1)
	v_dual_mov_b32 v8, s73 :: v_dual_bitop2_b32 v7, s31, v2 bitop3:0x40
	v_bcnt_u32_b32 v7, v7, 0
	ds_store_b32 v5, v8
	s_wait_dscnt 0x0
	s_barrier_signal -1
	s_barrier_wait -1
	s_and_saveexec_b32 s73, s0
	s_cbranch_execnz .LBB18_66
; %bb.34:                               ;   in Loop: Header=BB18_33 Depth=1
	s_or_b32 exec_lo, exec_lo, s73
	s_and_saveexec_b32 s73, s1
	s_cbranch_execnz .LBB18_67
.LBB18_35:                              ;   in Loop: Header=BB18_33 Depth=1
	s_or_b32 exec_lo, exec_lo, s73
	s_and_saveexec_b32 s73, s2
	s_cbranch_execnz .LBB18_68
.LBB18_36:                              ;   in Loop: Header=BB18_33 Depth=1
	s_or_b32 exec_lo, exec_lo, s73
	s_and_saveexec_b32 s73, s3
	s_cbranch_execnz .LBB18_69
.LBB18_37:                              ;   in Loop: Header=BB18_33 Depth=1
	s_or_b32 exec_lo, exec_lo, s73
	s_and_saveexec_b32 s73, s4
	s_cbranch_execnz .LBB18_70
.LBB18_38:                              ;   in Loop: Header=BB18_33 Depth=1
	s_or_b32 exec_lo, exec_lo, s73
	s_and_saveexec_b32 s73, s5
	s_cbranch_execnz .LBB18_71
.LBB18_39:                              ;   in Loop: Header=BB18_33 Depth=1
	s_or_b32 exec_lo, exec_lo, s73
	s_and_saveexec_b32 s73, s6
	s_cbranch_execnz .LBB18_72
.LBB18_40:                              ;   in Loop: Header=BB18_33 Depth=1
	s_or_b32 exec_lo, exec_lo, s73
	s_and_saveexec_b32 s73, s7
	s_cbranch_execnz .LBB18_73
.LBB18_41:                              ;   in Loop: Header=BB18_33 Depth=1
	s_or_b32 exec_lo, exec_lo, s73
	s_and_saveexec_b32 s73, s8
	s_cbranch_execnz .LBB18_74
.LBB18_42:                              ;   in Loop: Header=BB18_33 Depth=1
	s_or_b32 exec_lo, exec_lo, s73
	s_and_saveexec_b32 s73, s9
	s_cbranch_execnz .LBB18_75
.LBB18_43:                              ;   in Loop: Header=BB18_33 Depth=1
	s_or_b32 exec_lo, exec_lo, s73
	s_and_saveexec_b32 s73, s10
	s_cbranch_execnz .LBB18_76
.LBB18_44:                              ;   in Loop: Header=BB18_33 Depth=1
	s_or_b32 exec_lo, exec_lo, s73
	s_and_saveexec_b32 s73, s11
	s_cbranch_execnz .LBB18_77
.LBB18_45:                              ;   in Loop: Header=BB18_33 Depth=1
	s_or_b32 exec_lo, exec_lo, s73
	s_and_saveexec_b32 s73, s12
	s_cbranch_execnz .LBB18_78
.LBB18_46:                              ;   in Loop: Header=BB18_33 Depth=1
	s_or_b32 exec_lo, exec_lo, s73
	s_and_saveexec_b32 s73, s13
	s_cbranch_execnz .LBB18_79
.LBB18_47:                              ;   in Loop: Header=BB18_33 Depth=1
	s_or_b32 exec_lo, exec_lo, s73
	s_and_saveexec_b32 s73, s14
	s_cbranch_execnz .LBB18_80
.LBB18_48:                              ;   in Loop: Header=BB18_33 Depth=1
	s_or_b32 exec_lo, exec_lo, s73
	s_and_saveexec_b32 s73, s15
	s_cbranch_execnz .LBB18_81
.LBB18_49:                              ;   in Loop: Header=BB18_33 Depth=1
	s_or_b32 exec_lo, exec_lo, s73
	s_and_saveexec_b32 s73, s16
	s_cbranch_execnz .LBB18_82
.LBB18_50:                              ;   in Loop: Header=BB18_33 Depth=1
	s_or_b32 exec_lo, exec_lo, s73
	s_and_saveexec_b32 s73, s17
	s_cbranch_execnz .LBB18_83
.LBB18_51:                              ;   in Loop: Header=BB18_33 Depth=1
	s_or_b32 exec_lo, exec_lo, s73
	s_and_saveexec_b32 s73, s18
	s_cbranch_execnz .LBB18_84
.LBB18_52:                              ;   in Loop: Header=BB18_33 Depth=1
	s_or_b32 exec_lo, exec_lo, s73
	s_and_saveexec_b32 s73, s19
	s_cbranch_execnz .LBB18_85
.LBB18_53:                              ;   in Loop: Header=BB18_33 Depth=1
	s_or_b32 exec_lo, exec_lo, s73
	s_and_saveexec_b32 s73, s20
	s_cbranch_execnz .LBB18_86
.LBB18_54:                              ;   in Loop: Header=BB18_33 Depth=1
	s_or_b32 exec_lo, exec_lo, s73
	s_and_saveexec_b32 s73, s21
	s_cbranch_execnz .LBB18_87
.LBB18_55:                              ;   in Loop: Header=BB18_33 Depth=1
	s_or_b32 exec_lo, exec_lo, s73
	s_and_saveexec_b32 s73, s22
	s_cbranch_execnz .LBB18_88
.LBB18_56:                              ;   in Loop: Header=BB18_33 Depth=1
	s_or_b32 exec_lo, exec_lo, s73
	s_and_saveexec_b32 s73, s23
	s_cbranch_execnz .LBB18_89
.LBB18_57:                              ;   in Loop: Header=BB18_33 Depth=1
	s_or_b32 exec_lo, exec_lo, s73
	s_and_saveexec_b32 s73, s24
	s_cbranch_execnz .LBB18_90
.LBB18_58:                              ;   in Loop: Header=BB18_33 Depth=1
	s_or_b32 exec_lo, exec_lo, s73
	s_and_saveexec_b32 s73, s25
	s_cbranch_execnz .LBB18_91
.LBB18_59:                              ;   in Loop: Header=BB18_33 Depth=1
	s_or_b32 exec_lo, exec_lo, s73
	s_and_saveexec_b32 s73, s26
	s_cbranch_execnz .LBB18_92
.LBB18_60:                              ;   in Loop: Header=BB18_33 Depth=1
	s_or_b32 exec_lo, exec_lo, s73
	s_and_saveexec_b32 s73, s27
	s_cbranch_execnz .LBB18_93
.LBB18_61:                              ;   in Loop: Header=BB18_33 Depth=1
	s_or_b32 exec_lo, exec_lo, s73
	s_and_saveexec_b32 s73, s28
	s_cbranch_execnz .LBB18_94
.LBB18_62:                              ;   in Loop: Header=BB18_33 Depth=1
	s_or_b32 exec_lo, exec_lo, s73
	s_and_saveexec_b32 s73, s29
	s_cbranch_execnz .LBB18_95
.LBB18_63:                              ;   in Loop: Header=BB18_33 Depth=1
	s_or_b32 exec_lo, exec_lo, s73
	s_and_saveexec_b32 s73, s30
	s_cbranch_execnz .LBB18_96
.LBB18_64:                              ;   in Loop: Header=BB18_33 Depth=1
	s_or_b32 exec_lo, exec_lo, s73
	s_and_saveexec_b32 s73, s31
	s_cbranch_execnz .LBB18_97
.LBB18_65:                              ;   in Loop: Header=BB18_33 Depth=1
	s_or_b32 exec_lo, exec_lo, s73
	s_and_saveexec_b32 s31, vcc_lo
	s_cbranch_execz .LBB18_32
	s_branch .LBB18_98
.LBB18_66:                              ;   in Loop: Header=BB18_33 Depth=1
	v_mov_b32_e32 v8, s40
	ds_load_b32 v8, v8
	s_wait_dscnt 0x0
	v_add_nc_u32_e32 v7, v8, v7
	s_or_b32 exec_lo, exec_lo, s73
	s_and_saveexec_b32 s73, s1
	s_cbranch_execz .LBB18_35
.LBB18_67:                              ;   in Loop: Header=BB18_33 Depth=1
	v_mov_b32_e32 v8, s41
	ds_load_b32 v8, v8
	s_wait_dscnt 0x0
	v_add_nc_u32_e32 v7, v8, v7
	s_or_b32 exec_lo, exec_lo, s73
	s_and_saveexec_b32 s73, s2
	s_cbranch_execz .LBB18_36
.LBB18_68:                              ;   in Loop: Header=BB18_33 Depth=1
	v_mov_b32_e32 v8, s43
	ds_load_b32 v8, v8
	s_wait_dscnt 0x0
	v_add_nc_u32_e32 v7, v8, v7
	s_or_b32 exec_lo, exec_lo, s73
	s_and_saveexec_b32 s73, s3
	s_cbranch_execz .LBB18_37
.LBB18_69:                              ;   in Loop: Header=BB18_33 Depth=1
	v_mov_b32_e32 v8, s44
	ds_load_b32 v8, v8
	s_wait_dscnt 0x0
	v_add_nc_u32_e32 v7, v8, v7
	s_or_b32 exec_lo, exec_lo, s73
	s_and_saveexec_b32 s73, s4
	s_cbranch_execz .LBB18_38
.LBB18_70:                              ;   in Loop: Header=BB18_33 Depth=1
	v_mov_b32_e32 v8, s45
	ds_load_b32 v8, v8
	s_wait_dscnt 0x0
	v_add_nc_u32_e32 v7, v8, v7
	s_or_b32 exec_lo, exec_lo, s73
	s_and_saveexec_b32 s73, s5
	s_cbranch_execz .LBB18_39
.LBB18_71:                              ;   in Loop: Header=BB18_33 Depth=1
	v_mov_b32_e32 v8, s46
	ds_load_b32 v8, v8
	s_wait_dscnt 0x0
	v_add_nc_u32_e32 v7, v8, v7
	s_or_b32 exec_lo, exec_lo, s73
	s_and_saveexec_b32 s73, s6
	s_cbranch_execz .LBB18_40
.LBB18_72:                              ;   in Loop: Header=BB18_33 Depth=1
	v_mov_b32_e32 v8, s47
	ds_load_b32 v8, v8
	s_wait_dscnt 0x0
	v_add_nc_u32_e32 v7, v8, v7
	s_or_b32 exec_lo, exec_lo, s73
	s_and_saveexec_b32 s73, s7
	s_cbranch_execz .LBB18_41
.LBB18_73:                              ;   in Loop: Header=BB18_33 Depth=1
	v_mov_b32_e32 v8, s48
	ds_load_b32 v8, v8
	s_wait_dscnt 0x0
	v_add_nc_u32_e32 v7, v8, v7
	s_or_b32 exec_lo, exec_lo, s73
	s_and_saveexec_b32 s73, s8
	s_cbranch_execz .LBB18_42
.LBB18_74:                              ;   in Loop: Header=BB18_33 Depth=1
	v_mov_b32_e32 v8, s49
	ds_load_b32 v8, v8
	s_wait_dscnt 0x0
	v_add_nc_u32_e32 v7, v8, v7
	s_or_b32 exec_lo, exec_lo, s73
	s_and_saveexec_b32 s73, s9
	s_cbranch_execz .LBB18_43
.LBB18_75:                              ;   in Loop: Header=BB18_33 Depth=1
	v_mov_b32_e32 v8, s50
	ds_load_b32 v8, v8
	s_wait_dscnt 0x0
	v_add_nc_u32_e32 v7, v8, v7
	s_or_b32 exec_lo, exec_lo, s73
	s_and_saveexec_b32 s73, s10
	s_cbranch_execz .LBB18_44
.LBB18_76:                              ;   in Loop: Header=BB18_33 Depth=1
	v_mov_b32_e32 v8, s51
	ds_load_b32 v8, v8
	s_wait_dscnt 0x0
	v_add_nc_u32_e32 v7, v8, v7
	s_or_b32 exec_lo, exec_lo, s73
	s_and_saveexec_b32 s73, s11
	s_cbranch_execz .LBB18_45
.LBB18_77:                              ;   in Loop: Header=BB18_33 Depth=1
	v_mov_b32_e32 v8, s52
	ds_load_b32 v8, v8
	s_wait_dscnt 0x0
	v_add_nc_u32_e32 v7, v8, v7
	s_or_b32 exec_lo, exec_lo, s73
	s_and_saveexec_b32 s73, s12
	s_cbranch_execz .LBB18_46
.LBB18_78:                              ;   in Loop: Header=BB18_33 Depth=1
	v_mov_b32_e32 v8, s53
	ds_load_b32 v8, v8
	s_wait_dscnt 0x0
	v_add_nc_u32_e32 v7, v8, v7
	s_or_b32 exec_lo, exec_lo, s73
	s_and_saveexec_b32 s73, s13
	s_cbranch_execz .LBB18_47
.LBB18_79:                              ;   in Loop: Header=BB18_33 Depth=1
	v_mov_b32_e32 v8, s54
	ds_load_b32 v8, v8
	s_wait_dscnt 0x0
	v_add_nc_u32_e32 v7, v8, v7
	s_or_b32 exec_lo, exec_lo, s73
	s_and_saveexec_b32 s73, s14
	s_cbranch_execz .LBB18_48
.LBB18_80:                              ;   in Loop: Header=BB18_33 Depth=1
	v_mov_b32_e32 v8, s55
	ds_load_b32 v8, v8
	s_wait_dscnt 0x0
	v_add_nc_u32_e32 v7, v8, v7
	s_or_b32 exec_lo, exec_lo, s73
	s_and_saveexec_b32 s73, s15
	s_cbranch_execz .LBB18_49
.LBB18_81:                              ;   in Loop: Header=BB18_33 Depth=1
	v_mov_b32_e32 v8, s56
	ds_load_b32 v8, v8
	s_wait_dscnt 0x0
	v_add_nc_u32_e32 v7, v8, v7
	s_or_b32 exec_lo, exec_lo, s73
	s_and_saveexec_b32 s73, s16
	s_cbranch_execz .LBB18_50
.LBB18_82:                              ;   in Loop: Header=BB18_33 Depth=1
	v_mov_b32_e32 v8, s57
	ds_load_b32 v8, v8
	s_wait_dscnt 0x0
	v_add_nc_u32_e32 v7, v8, v7
	s_or_b32 exec_lo, exec_lo, s73
	s_and_saveexec_b32 s73, s17
	s_cbranch_execz .LBB18_51
.LBB18_83:                              ;   in Loop: Header=BB18_33 Depth=1
	v_mov_b32_e32 v8, s58
	ds_load_b32 v8, v8
	s_wait_dscnt 0x0
	v_add_nc_u32_e32 v7, v8, v7
	s_or_b32 exec_lo, exec_lo, s73
	s_and_saveexec_b32 s73, s18
	s_cbranch_execz .LBB18_52
.LBB18_84:                              ;   in Loop: Header=BB18_33 Depth=1
	v_mov_b32_e32 v8, s59
	ds_load_b32 v8, v8
	s_wait_dscnt 0x0
	v_add_nc_u32_e32 v7, v8, v7
	s_or_b32 exec_lo, exec_lo, s73
	s_and_saveexec_b32 s73, s19
	s_cbranch_execz .LBB18_53
.LBB18_85:                              ;   in Loop: Header=BB18_33 Depth=1
	v_mov_b32_e32 v8, s60
	ds_load_b32 v8, v8
	s_wait_dscnt 0x0
	v_add_nc_u32_e32 v7, v8, v7
	s_or_b32 exec_lo, exec_lo, s73
	s_and_saveexec_b32 s73, s20
	s_cbranch_execz .LBB18_54
.LBB18_86:                              ;   in Loop: Header=BB18_33 Depth=1
	v_mov_b32_e32 v8, s61
	ds_load_b32 v8, v8
	s_wait_dscnt 0x0
	v_add_nc_u32_e32 v7, v8, v7
	s_or_b32 exec_lo, exec_lo, s73
	s_and_saveexec_b32 s73, s21
	s_cbranch_execz .LBB18_55
.LBB18_87:                              ;   in Loop: Header=BB18_33 Depth=1
	v_mov_b32_e32 v8, s62
	ds_load_b32 v8, v8
	s_wait_dscnt 0x0
	v_add_nc_u32_e32 v7, v8, v7
	s_or_b32 exec_lo, exec_lo, s73
	s_and_saveexec_b32 s73, s22
	s_cbranch_execz .LBB18_56
.LBB18_88:                              ;   in Loop: Header=BB18_33 Depth=1
	v_mov_b32_e32 v8, s63
	ds_load_b32 v8, v8
	s_wait_dscnt 0x0
	v_add_nc_u32_e32 v7, v8, v7
	s_or_b32 exec_lo, exec_lo, s73
	s_and_saveexec_b32 s73, s23
	s_cbranch_execz .LBB18_57
.LBB18_89:                              ;   in Loop: Header=BB18_33 Depth=1
	v_mov_b32_e32 v8, s64
	ds_load_b32 v8, v8
	s_wait_dscnt 0x0
	v_add_nc_u32_e32 v7, v8, v7
	s_or_b32 exec_lo, exec_lo, s73
	s_and_saveexec_b32 s73, s24
	s_cbranch_execz .LBB18_58
.LBB18_90:                              ;   in Loop: Header=BB18_33 Depth=1
	v_mov_b32_e32 v8, s65
	ds_load_b32 v8, v8
	s_wait_dscnt 0x0
	v_add_nc_u32_e32 v7, v8, v7
	s_or_b32 exec_lo, exec_lo, s73
	s_and_saveexec_b32 s73, s25
	s_cbranch_execz .LBB18_59
.LBB18_91:                              ;   in Loop: Header=BB18_33 Depth=1
	v_mov_b32_e32 v8, s66
	ds_load_b32 v8, v8
	s_wait_dscnt 0x0
	v_add_nc_u32_e32 v7, v8, v7
	s_or_b32 exec_lo, exec_lo, s73
	s_and_saveexec_b32 s73, s26
	s_cbranch_execz .LBB18_60
.LBB18_92:                              ;   in Loop: Header=BB18_33 Depth=1
	v_mov_b32_e32 v8, s67
	ds_load_b32 v8, v8
	s_wait_dscnt 0x0
	v_add_nc_u32_e32 v7, v8, v7
	s_or_b32 exec_lo, exec_lo, s73
	s_and_saveexec_b32 s73, s27
	s_cbranch_execz .LBB18_61
.LBB18_93:                              ;   in Loop: Header=BB18_33 Depth=1
	v_mov_b32_e32 v8, s68
	ds_load_b32 v8, v8
	s_wait_dscnt 0x0
	v_add_nc_u32_e32 v7, v8, v7
	s_or_b32 exec_lo, exec_lo, s73
	s_and_saveexec_b32 s73, s28
	s_cbranch_execz .LBB18_62
.LBB18_94:                              ;   in Loop: Header=BB18_33 Depth=1
	v_mov_b32_e32 v8, s69
	ds_load_b32 v8, v8
	s_wait_dscnt 0x0
	v_add_nc_u32_e32 v7, v8, v7
	s_or_b32 exec_lo, exec_lo, s73
	s_and_saveexec_b32 s73, s29
	s_cbranch_execz .LBB18_63
.LBB18_95:                              ;   in Loop: Header=BB18_33 Depth=1
	v_mov_b32_e32 v8, s70
	ds_load_b32 v8, v8
	s_wait_dscnt 0x0
	v_add_nc_u32_e32 v7, v8, v7
	s_or_b32 exec_lo, exec_lo, s73
	s_and_saveexec_b32 s73, s30
	s_cbranch_execz .LBB18_64
.LBB18_96:                              ;   in Loop: Header=BB18_33 Depth=1
	v_mov_b32_e32 v8, s71
	ds_load_b32 v8, v8
	s_wait_dscnt 0x0
	v_add_nc_u32_e32 v7, v8, v7
	s_or_b32 exec_lo, exec_lo, s73
	s_and_saveexec_b32 s73, s31
	s_cbranch_execz .LBB18_65
.LBB18_97:                              ;   in Loop: Header=BB18_33 Depth=1
	s_delay_alu instid0(VALU_DEP_1) | instskip(NEXT) | instid1(VALU_DEP_1)
	v_dual_lshlrev_b32 v8, 2, v4 :: v_dual_lshlrev_b32 v9, 2, v7
	v_add_nc_u32_e32 v8, 0, v8
	s_delay_alu instid0(VALU_DEP_1)
	v_add3_u32 v8, v8, v9, -4
	ds_store_b32 v8, v6
	s_or_b32 exec_lo, exec_lo, s73
	s_and_saveexec_b32 s31, vcc_lo
	s_cbranch_execz .LBB18_32
.LBB18_98:                              ;   in Loop: Header=BB18_33 Depth=1
	v_mov_b32_e32 v6, s72
	ds_store_b32 v6, v7
	s_branch .LBB18_32
.LBB18_99:
	s_or_b32 exec_lo, exec_lo, s35
	s_ashr_i32 s35, s34, 31
	s_delay_alu instid0(SALU_CYCLE_1) | instskip(NEXT) | instid1(SALU_CYCLE_1)
	s_lshl_b64 s[0:1], s[34:35], 2
	s_add_nc_u64 s[2:3], s[36:37], s[0:1]
	s_load_b64 s[0:1], s[2:3], 0x0
	s_wait_kmcnt 0x0
	s_sub_co_i32 s4, s1, s0
	s_mov_b32 s1, exec_lo
	v_cmpx_gt_i32_e64 s4, v0
	s_cbranch_execz .LBB18_113
; %bb.100:
	v_sub_co_u32 v1, s1, s4, 2
	s_sub_co_i32 s2, s0, s42
	s_xor_b32 s6, s1, -1
	s_and_b32 s5, s4, -2
	v_readfirstlane_b32 s3, v1
	s_lshr_b32 s0, s3, 1
	s_mov_b32 s3, 0
	s_add_co_i32 s0, s0, 1
	s_mov_b32 s11, s3
	s_and_b32 s1, s0, 7
	s_and_b32 s7, s0, -8
	s_cmp_lg_u32 s1, 0
	v_cmp_lt_u32_e64 s0, 13, v1
	s_cselect_b32 s8, -1, 0
	s_cmp_lg_u32 s4, s5
	s_cselect_b32 s9, -1, 0
	s_lshl_b32 s10, s1, 3
	s_branch .LBB18_102
.LBB18_101:                             ;   in Loop: Header=BB18_102 Depth=1
	v_add_nc_u32_e32 v0, 0x400, v0
	s_wait_dscnt 0x0
	v_add_nc_u32_e32 v1, s42, v1
	s_delay_alu instid0(VALU_DEP_2)
	v_cmp_le_i32_e32 vcc_lo, s4, v0
	global_store_b32 v2, v1, s[38:39] scale_offset
	s_or_b32 s11, vcc_lo, s11
	s_wait_xcnt 0x0
	s_and_not1_b32 exec_lo, exec_lo, s11
	s_cbranch_execz .LBB18_113
.LBB18_102:                             ; =>This Loop Header: Depth=1
                                        ;     Child Loop BB18_105 Depth 2
                                        ;     Child Loop BB18_108 Depth 2
	;; [unrolled: 1-line block ×3, first 2 shown]
	v_lshl_add_u32 v1, v0, 2, 0
	v_mov_b32_e32 v2, s2
	s_and_not1_b32 vcc_lo, exec_lo, s6
	s_mov_b32 s1, 0
	s_mov_b32 s12, -1
	ds_load_b32 v1, v1
	s_cbranch_vccnz .LBB18_110
; %bb.103:                              ;   in Loop: Header=BB18_102 Depth=1
	v_mov_b64_e32 v[2:3], s[2:3]
	s_and_not1_b32 vcc_lo, exec_lo, s0
	s_mov_b32 s12, 0
	s_cbranch_vccnz .LBB18_106
; %bb.104:                              ;   in Loop: Header=BB18_102 Depth=1
	v_dual_mov_b32 v2, s2 :: v_dual_mov_b32 v3, 0
	s_mov_b32 s13, 0
	s_mov_b32 s14, s7
.LBB18_105:                             ;   Parent Loop BB18_102 Depth=1
                                        ; =>  This Inner Loop Header: Depth=2
	v_mov_b32_e32 v18, s13
	s_add_co_i32 s14, s14, -8
	s_add_co_i32 s12, s12, 16
	s_add_co_i32 s13, s13, 64
	s_cmp_lg_u32 s14, 0
	ds_load_2addr_b32 v[4:5], v18 offset1:1
	ds_load_2addr_b32 v[6:7], v18 offset0:2 offset1:3
	ds_load_2addr_b32 v[8:9], v18 offset0:4 offset1:5
	;; [unrolled: 1-line block ×7, first 2 shown]
	s_wait_dscnt 0x7
	v_cmp_gt_i32_e32 vcc_lo, v1, v5
	s_wait_dscnt 0x5
	v_cmp_gt_i32_e64 s1, v1, v8
	v_cndmask_b32_e64 v5, 0, 1, vcc_lo
	v_cmp_gt_i32_e32 vcc_lo, v1, v4
	v_cndmask_b32_e64 v4, 0, 1, vcc_lo
	v_cmp_gt_i32_e32 vcc_lo, v1, v6
	v_cndmask_b32_e64 v6, 0, 1, s1
	v_cmp_gt_i32_e64 s1, v1, v9
	s_delay_alu instid0(VALU_DEP_4) | instskip(NEXT) | instid1(VALU_DEP_2)
	v_add_co_ci_u32_e64 v2, null, v2, v4, vcc_lo
	v_cndmask_b32_e64 v8, 0, 1, s1
	s_wait_dscnt 0x4
	v_cmp_gt_i32_e64 s1, v1, v11
	s_wait_dscnt 0x2
	v_cmp_gt_i32_e32 vcc_lo, v1, v14
	s_delay_alu instid0(VALU_DEP_2) | instskip(SKIP_4) | instid1(VALU_DEP_3)
	v_cndmask_b32_e64 v9, 0, 1, s1
	v_cmp_gt_i32_e64 s1, v1, v10
	v_add_co_ci_u32_e64 v2, null, v2, v6, vcc_lo
	s_wait_dscnt 0x1
	v_cmp_gt_i32_e32 vcc_lo, v1, v16
	v_cndmask_b32_e64 v10, 0, 1, s1
	v_cmp_gt_i32_e64 s1, v1, v12
	s_delay_alu instid0(VALU_DEP_2) | instskip(NEXT) | instid1(VALU_DEP_2)
	v_add_co_ci_u32_e64 v2, null, v2, v10, vcc_lo
	v_cndmask_b32_e64 v11, 0, 1, s1
	v_cmp_gt_i32_e64 s1, v1, v13
	s_wait_dscnt 0x0
	v_cmp_gt_i32_e32 vcc_lo, v1, v18
	s_delay_alu instid0(VALU_DEP_2) | instskip(SKIP_2) | instid1(VALU_DEP_2)
	v_cndmask_b32_e64 v12, 0, 1, s1
	v_cmp_gt_i32_e64 s1, v1, v7
	v_add_co_ci_u32_e64 v2, null, v2, v11, vcc_lo
	v_add_co_ci_u32_e64 v3, null, v3, v5, s1
	v_cmp_gt_i32_e64 s1, v1, v15
	s_delay_alu instid0(VALU_DEP_1) | instskip(SKIP_1) | instid1(VALU_DEP_1)
	v_add_co_ci_u32_e64 v3, null, v3, v8, s1
	v_cmp_gt_i32_e64 s1, v1, v17
	v_add_co_ci_u32_e64 v3, null, v3, v9, s1
	v_cmp_gt_i32_e64 s1, v1, v19
	s_delay_alu instid0(VALU_DEP_1)
	v_add_co_ci_u32_e64 v3, null, v3, v12, s1
	s_cbranch_scc1 .LBB18_105
.LBB18_106:                             ;   in Loop: Header=BB18_102 Depth=1
	s_and_not1_b32 vcc_lo, exec_lo, s8
	s_cbranch_vccnz .LBB18_109
; %bb.107:                              ;   in Loop: Header=BB18_102 Depth=1
	s_lshl_b32 s1, s12, 2
	s_mov_b32 s12, s10
	s_add_co_i32 s1, s1, 0
.LBB18_108:                             ;   Parent Loop BB18_102 Depth=1
                                        ; =>  This Inner Loop Header: Depth=2
	s_delay_alu instid0(SALU_CYCLE_1)
	v_mov_b32_e32 v4, s1
	s_add_co_i32 s12, s12, -8
	s_add_co_i32 s1, s1, 8
	s_cmp_lg_u32 s12, 0
	ds_load_2addr_b32 v[4:5], v4 offset1:1
	s_wait_dscnt 0x0
	v_cmp_gt_i32_e32 vcc_lo, v1, v5
	v_add_co_ci_u32_e64 v3, null, 0, v3, vcc_lo
	v_cmp_gt_i32_e32 vcc_lo, v1, v4
	v_add_co_ci_u32_e64 v2, null, 0, v2, vcc_lo
	s_cbranch_scc1 .LBB18_108
.LBB18_109:                             ;   in Loop: Header=BB18_102 Depth=1
	s_delay_alu instid0(VALU_DEP_1)
	v_add_nc_u32_e32 v2, v2, v3
	s_mov_b32 s1, s5
	s_mov_b32 s12, s9
.LBB18_110:                             ;   in Loop: Header=BB18_102 Depth=1
	s_delay_alu instid0(SALU_CYCLE_1)
	s_and_b32 vcc_lo, exec_lo, s12
	s_cbranch_vccz .LBB18_101
; %bb.111:                              ;   in Loop: Header=BB18_102 Depth=1
	s_lshl_b32 s12, s1, 2
	s_delay_alu instid0(SALU_CYCLE_1)
	s_add_co_i32 s12, s12, 0
.LBB18_112:                             ;   Parent Loop BB18_102 Depth=1
                                        ; =>  This Inner Loop Header: Depth=2
	s_delay_alu instid0(SALU_CYCLE_1)
	v_mov_b32_e32 v3, s12
	s_add_co_i32 s1, s1, 1
	s_add_co_i32 s12, s12, 4
	s_cmp_ge_i32 s1, s4
	ds_load_b32 v3, v3
	s_wait_dscnt 0x0
	v_cmp_gt_i32_e32 vcc_lo, v1, v3
	v_add_co_ci_u32_e64 v2, null, 0, v2, vcc_lo
	s_cbranch_scc0 .LBB18_112
	s_branch .LBB18_101
.LBB18_113:
	s_endpgm
	.section	.rodata,"a",@progbits
	.p2align	6, 0x0
	.amdhsa_kernel _ZN9rocsparseL35csrgemm_symbolic_fill_block_per_rowILj1024ELj64ELj16384ELj137ELj32EiiEEvT5_PKS1_S3_PKT4_S3_S6_S3_S6_S3_S6_PS1_21rocsparse_index_base_S8_S8_S8_bb
		.amdhsa_group_segment_fixed_size 0
		.amdhsa_private_segment_fixed_size 0
		.amdhsa_kernarg_size 108
		.amdhsa_user_sgpr_count 2
		.amdhsa_user_sgpr_dispatch_ptr 0
		.amdhsa_user_sgpr_queue_ptr 0
		.amdhsa_user_sgpr_kernarg_segment_ptr 1
		.amdhsa_user_sgpr_dispatch_id 0
		.amdhsa_user_sgpr_kernarg_preload_length 0
		.amdhsa_user_sgpr_kernarg_preload_offset 0
		.amdhsa_user_sgpr_private_segment_size 0
		.amdhsa_wavefront_size32 1
		.amdhsa_uses_dynamic_stack 0
		.amdhsa_enable_private_segment 0
		.amdhsa_system_sgpr_workgroup_id_x 1
		.amdhsa_system_sgpr_workgroup_id_y 0
		.amdhsa_system_sgpr_workgroup_id_z 0
		.amdhsa_system_sgpr_workgroup_info 0
		.amdhsa_system_vgpr_workitem_id 0
		.amdhsa_next_free_vgpr 20
		.amdhsa_next_free_sgpr 74
		.amdhsa_named_barrier_count 0
		.amdhsa_reserve_vcc 1
		.amdhsa_float_round_mode_32 0
		.amdhsa_float_round_mode_16_64 0
		.amdhsa_float_denorm_mode_32 3
		.amdhsa_float_denorm_mode_16_64 3
		.amdhsa_fp16_overflow 0
		.amdhsa_memory_ordered 1
		.amdhsa_forward_progress 1
		.amdhsa_inst_pref_size 33
		.amdhsa_round_robin_scheduling 0
		.amdhsa_exception_fp_ieee_invalid_op 0
		.amdhsa_exception_fp_denorm_src 0
		.amdhsa_exception_fp_ieee_div_zero 0
		.amdhsa_exception_fp_ieee_overflow 0
		.amdhsa_exception_fp_ieee_underflow 0
		.amdhsa_exception_fp_ieee_inexact 0
		.amdhsa_exception_int_div_zero 0
	.end_amdhsa_kernel
	.section	.text._ZN9rocsparseL35csrgemm_symbolic_fill_block_per_rowILj1024ELj64ELj16384ELj137ELj32EiiEEvT5_PKS1_S3_PKT4_S3_S6_S3_S6_S3_S6_PS1_21rocsparse_index_base_S8_S8_S8_bb,"axG",@progbits,_ZN9rocsparseL35csrgemm_symbolic_fill_block_per_rowILj1024ELj64ELj16384ELj137ELj32EiiEEvT5_PKS1_S3_PKT4_S3_S6_S3_S6_S3_S6_PS1_21rocsparse_index_base_S8_S8_S8_bb,comdat
.Lfunc_end18:
	.size	_ZN9rocsparseL35csrgemm_symbolic_fill_block_per_rowILj1024ELj64ELj16384ELj137ELj32EiiEEvT5_PKS1_S3_PKT4_S3_S6_S3_S6_S3_S6_PS1_21rocsparse_index_base_S8_S8_S8_bb, .Lfunc_end18-_ZN9rocsparseL35csrgemm_symbolic_fill_block_per_rowILj1024ELj64ELj16384ELj137ELj32EiiEEvT5_PKS1_S3_PKT4_S3_S6_S3_S6_S3_S6_PS1_21rocsparse_index_base_S8_S8_S8_bb
                                        ; -- End function
	.set _ZN9rocsparseL35csrgemm_symbolic_fill_block_per_rowILj1024ELj64ELj16384ELj137ELj32EiiEEvT5_PKS1_S3_PKT4_S3_S6_S3_S6_S3_S6_PS1_21rocsparse_index_base_S8_S8_S8_bb.num_vgpr, 20
	.set _ZN9rocsparseL35csrgemm_symbolic_fill_block_per_rowILj1024ELj64ELj16384ELj137ELj32EiiEEvT5_PKS1_S3_PKT4_S3_S6_S3_S6_S3_S6_PS1_21rocsparse_index_base_S8_S8_S8_bb.num_agpr, 0
	.set _ZN9rocsparseL35csrgemm_symbolic_fill_block_per_rowILj1024ELj64ELj16384ELj137ELj32EiiEEvT5_PKS1_S3_PKT4_S3_S6_S3_S6_S3_S6_PS1_21rocsparse_index_base_S8_S8_S8_bb.numbered_sgpr, 74
	.set _ZN9rocsparseL35csrgemm_symbolic_fill_block_per_rowILj1024ELj64ELj16384ELj137ELj32EiiEEvT5_PKS1_S3_PKT4_S3_S6_S3_S6_S3_S6_PS1_21rocsparse_index_base_S8_S8_S8_bb.num_named_barrier, 0
	.set _ZN9rocsparseL35csrgemm_symbolic_fill_block_per_rowILj1024ELj64ELj16384ELj137ELj32EiiEEvT5_PKS1_S3_PKT4_S3_S6_S3_S6_S3_S6_PS1_21rocsparse_index_base_S8_S8_S8_bb.private_seg_size, 0
	.set _ZN9rocsparseL35csrgemm_symbolic_fill_block_per_rowILj1024ELj64ELj16384ELj137ELj32EiiEEvT5_PKS1_S3_PKT4_S3_S6_S3_S6_S3_S6_PS1_21rocsparse_index_base_S8_S8_S8_bb.uses_vcc, 1
	.set _ZN9rocsparseL35csrgemm_symbolic_fill_block_per_rowILj1024ELj64ELj16384ELj137ELj32EiiEEvT5_PKS1_S3_PKT4_S3_S6_S3_S6_S3_S6_PS1_21rocsparse_index_base_S8_S8_S8_bb.uses_flat_scratch, 0
	.set _ZN9rocsparseL35csrgemm_symbolic_fill_block_per_rowILj1024ELj64ELj16384ELj137ELj32EiiEEvT5_PKS1_S3_PKT4_S3_S6_S3_S6_S3_S6_PS1_21rocsparse_index_base_S8_S8_S8_bb.has_dyn_sized_stack, 0
	.set _ZN9rocsparseL35csrgemm_symbolic_fill_block_per_rowILj1024ELj64ELj16384ELj137ELj32EiiEEvT5_PKS1_S3_PKT4_S3_S6_S3_S6_S3_S6_PS1_21rocsparse_index_base_S8_S8_S8_bb.has_recursion, 0
	.set _ZN9rocsparseL35csrgemm_symbolic_fill_block_per_rowILj1024ELj64ELj16384ELj137ELj32EiiEEvT5_PKS1_S3_PKT4_S3_S6_S3_S6_S3_S6_PS1_21rocsparse_index_base_S8_S8_S8_bb.has_indirect_call, 0
	.section	.AMDGPU.csdata,"",@progbits
; Kernel info:
; codeLenInByte = 4160
; TotalNumSgprs: 76
; NumVgprs: 20
; ScratchSize: 0
; MemoryBound: 0
; FloatMode: 240
; IeeeMode: 1
; LDSByteSize: 0 bytes/workgroup (compile time only)
; SGPRBlocks: 0
; VGPRBlocks: 1
; NumSGPRsForWavesPerEU: 76
; NumVGPRsForWavesPerEU: 20
; NamedBarCnt: 0
; Occupancy: 16
; WaveLimiterHint : 1
; COMPUTE_PGM_RSRC2:SCRATCH_EN: 0
; COMPUTE_PGM_RSRC2:USER_SGPR: 2
; COMPUTE_PGM_RSRC2:TRAP_HANDLER: 0
; COMPUTE_PGM_RSRC2:TGID_X_EN: 1
; COMPUTE_PGM_RSRC2:TGID_Y_EN: 0
; COMPUTE_PGM_RSRC2:TGID_Z_EN: 0
; COMPUTE_PGM_RSRC2:TIDIG_COMP_CNT: 0
	.section	.text._ZN9rocsparseL35csrgemm_symbolic_fill_block_per_rowILj1024ELj64ELj16384ELj137ELj64EiiEEvT5_PKS1_S3_PKT4_S3_S6_S3_S6_S3_S6_PS1_21rocsparse_index_base_S8_S8_S8_bb,"axG",@progbits,_ZN9rocsparseL35csrgemm_symbolic_fill_block_per_rowILj1024ELj64ELj16384ELj137ELj64EiiEEvT5_PKS1_S3_PKT4_S3_S6_S3_S6_S3_S6_PS1_21rocsparse_index_base_S8_S8_S8_bb,comdat
	.globl	_ZN9rocsparseL35csrgemm_symbolic_fill_block_per_rowILj1024ELj64ELj16384ELj137ELj64EiiEEvT5_PKS1_S3_PKT4_S3_S6_S3_S6_S3_S6_PS1_21rocsparse_index_base_S8_S8_S8_bb ; -- Begin function _ZN9rocsparseL35csrgemm_symbolic_fill_block_per_rowILj1024ELj64ELj16384ELj137ELj64EiiEEvT5_PKS1_S3_PKT4_S3_S6_S3_S6_S3_S6_PS1_21rocsparse_index_base_S8_S8_S8_bb
	.p2align	8
	.type	_ZN9rocsparseL35csrgemm_symbolic_fill_block_per_rowILj1024ELj64ELj16384ELj137ELj64EiiEEvT5_PKS1_S3_PKT4_S3_S6_S3_S6_S3_S6_PS1_21rocsparse_index_base_S8_S8_S8_bb,@function
_ZN9rocsparseL35csrgemm_symbolic_fill_block_per_rowILj1024ELj64ELj16384ELj137ELj64EiiEEvT5_PKS1_S3_PKT4_S3_S6_S3_S6_S3_S6_PS1_21rocsparse_index_base_S8_S8_S8_bb: ; @_ZN9rocsparseL35csrgemm_symbolic_fill_block_per_rowILj1024ELj64ELj16384ELj137ELj64EiiEEvT5_PKS1_S3_PKT4_S3_S6_S3_S6_S3_S6_PS1_21rocsparse_index_base_S8_S8_S8_bb
; %bb.0:
	s_clause 0x3
	s_load_b32 s30, s[0:1], 0x0
	s_load_b128 s[20:23], s[0:1], 0x48
	s_load_b256 s[4:11], s[0:1], 0x28
	s_load_b256 s[12:19], s[0:1], 0x8
	v_lshl_add_u32 v1, v0, 2, 0
	v_or_b32_e32 v3, 0xfffffc00, v0
	s_mov_b32 s2, 0
	s_delay_alu instid0(VALU_DEP_1)
	v_dual_mov_b32 v2, v1 :: v_dual_mov_b32 v5, v3
	s_wait_kmcnt 0x0
	v_mov_b32_e32 v4, s30
.LBB19_1:                               ; =>This Inner Loop Header: Depth=1
	s_delay_alu instid0(VALU_DEP_2) | instskip(SKIP_4) | instid1(SALU_CYCLE_1)
	v_add_nc_u32_e32 v5, 0x400, v5
	ds_store_b32 v2, v4
	v_add_nc_u32_e32 v2, 0x1000, v2
	v_cmp_lt_u32_e32 vcc_lo, 0x3bff, v5
	s_or_b32 s2, vcc_lo, s2
	s_and_not1_b32 exec_lo, exec_lo, s2
	s_cbranch_execnz .LBB19_1
; %bb.2:
	s_or_b32 exec_lo, exec_lo, s2
	s_load_b32 s2, s[0:1], 0x68
	s_wait_dscnt 0x0
	s_barrier_signal -1
	s_barrier_wait -1
	s_load_b32 s3, s[12:13], 0x0
	s_getreg_b32 s25, hwreg(HW_REG_IB_STS2, 6, 4)
	v_lshrrev_b32_e32 v2, 6, v0
	s_wait_kmcnt 0x0
	s_bitcmp1_b32 s2, 0
	s_cselect_b32 s12, -1, 0
	s_bfe_u32 s13, ttmp6, 0x4000c
	s_and_b32 s24, ttmp6, 15
	s_add_co_i32 s13, s13, 1
	s_delay_alu instid0(SALU_CYCLE_1) | instskip(NEXT) | instid1(SALU_CYCLE_1)
	s_mul_i32 s13, ttmp9, s13
	s_add_co_i32 s24, s24, s13
	s_cmp_eq_u32 s25, 0
	s_cselect_b32 s13, ttmp9, s24
	s_and_b32 vcc_lo, exec_lo, s12
	s_add_co_i32 s3, s3, s13
	s_load_b128 s[24:27], s[0:1], 0x58
	s_load_b32 s28, s[14:15], s3 offset:0x0 scale_offset
	s_cbranch_vccz .LBB19_18
; %bb.3:
	s_wait_kmcnt 0x0
	s_ashr_i32 s29, s28, 31
	v_subrev_nc_u32_e32 v4, s24, v2
	s_lshl_b64 s[0:1], s[28:29], 2
	s_delay_alu instid0(SALU_CYCLE_1)
	s_add_nc_u64 s[0:1], s[16:17], s[0:1]
	s_load_b64 s[12:13], s[0:1], 0x0
	s_wait_xcnt 0x0
	s_mov_b32 s1, exec_lo
	s_wait_kmcnt 0x0
	v_add_nc_u32_e32 v4, s12, v4
	s_sub_co_i32 s0, s13, s24
	s_delay_alu instid0(VALU_DEP_1) | instid1(SALU_CYCLE_1)
	v_cmpx_gt_i32_e64 s0, v4
	s_cbranch_execz .LBB19_17
; %bb.4:
	v_and_b32_e32 v5, 63, v0
	s_mov_b32 s3, 0
	s_delay_alu instid0(VALU_DEP_1)
	v_subrev_nc_u32_e32 v5, s25, v5
	s_branch .LBB19_6
.LBB19_5:                               ;   in Loop: Header=BB19_6 Depth=1
	s_or_b32 exec_lo, exec_lo, s12
	v_add_nc_u32_e32 v4, 16, v4
	s_delay_alu instid0(VALU_DEP_1) | instskip(SKIP_1) | instid1(SALU_CYCLE_1)
	v_cmp_le_i32_e32 vcc_lo, s0, v4
	s_or_b32 s3, vcc_lo, s3
	s_and_not1_b32 exec_lo, exec_lo, s3
	s_cbranch_execz .LBB19_17
.LBB19_6:                               ; =>This Loop Header: Depth=1
                                        ;     Child Loop BB19_9 Depth 2
                                        ;       Child Loop BB19_12 Depth 3
	global_load_b32 v6, v4, s[18:19] scale_offset
	s_mov_b32 s12, exec_lo
	s_wait_loadcnt 0x0
	v_subrev_nc_u32_e32 v6, s24, v6
	s_delay_alu instid0(VALU_DEP_1) | instskip(NEXT) | instid1(VALU_DEP_1)
	v_ashrrev_i32_e32 v7, 31, v6
	v_lshl_add_u64 v[6:7], v[6:7], 2, s[4:5]
	global_load_b64 v[8:9], v[6:7], off
	s_wait_loadcnt 0x0
	v_subrev_nc_u32_e32 v6, s25, v9
	v_add_nc_u32_e32 v7, v8, v5
	s_delay_alu instid0(VALU_DEP_1)
	v_cmpx_lt_i32_e64 v7, v6
	s_cbranch_execz .LBB19_5
; %bb.7:                                ;   in Loop: Header=BB19_6 Depth=1
	s_mov_b32 s13, 0
	s_branch .LBB19_9
.LBB19_8:                               ;   in Loop: Header=BB19_9 Depth=2
	s_or_b32 exec_lo, exec_lo, s14
	v_add_nc_u32_e32 v7, 64, v7
	s_delay_alu instid0(VALU_DEP_1) | instskip(SKIP_1) | instid1(SALU_CYCLE_1)
	v_cmp_ge_i32_e32 vcc_lo, v7, v6
	s_or_b32 s13, vcc_lo, s13
	s_and_not1_b32 exec_lo, exec_lo, s13
	s_cbranch_execz .LBB19_5
.LBB19_9:                               ;   Parent Loop BB19_6 Depth=1
                                        ; =>  This Loop Header: Depth=2
                                        ;       Child Loop BB19_12 Depth 3
	global_load_b32 v8, v7, s[6:7] scale_offset
	s_mov_b32 s14, 0
                                        ; implicit-def: $sgpr15
	s_wait_loadcnt 0x0
	v_subrev_nc_u32_e32 v8, s25, v8
	s_delay_alu instid0(VALU_DEP_1) | instskip(NEXT) | instid1(VALU_DEP_1)
	v_mul_lo_u32 v9, 0x89, v8
	v_and_b32_e32 v9, 0x3fff, v9
	s_branch .LBB19_12
.LBB19_10:                              ;   in Loop: Header=BB19_12 Depth=3
	s_or_b32 exec_lo, exec_lo, s17
	s_delay_alu instid0(SALU_CYCLE_1) | instskip(SKIP_1) | instid1(SALU_CYCLE_1)
	s_and_not1_b32 s15, s15, exec_lo
	s_and_b32 s17, s29, exec_lo
	s_or_b32 s15, s15, s17
.LBB19_11:                              ;   in Loop: Header=BB19_12 Depth=3
	s_or_b32 exec_lo, exec_lo, s16
	s_xor_b32 s16, s15, -1
	s_delay_alu instid0(SALU_CYCLE_1) | instskip(NEXT) | instid1(SALU_CYCLE_1)
	s_and_b32 s16, exec_lo, s16
	s_or_b32 s14, s16, s14
	s_delay_alu instid0(SALU_CYCLE_1)
	s_and_not1_b32 exec_lo, exec_lo, s14
	s_cbranch_execz .LBB19_8
.LBB19_12:                              ;   Parent Loop BB19_6 Depth=1
                                        ;     Parent Loop BB19_9 Depth=2
                                        ; =>    This Inner Loop Header: Depth=3
	s_delay_alu instid0(VALU_DEP_1)
	v_lshl_add_u32 v10, v9, 2, 0
	s_and_not1_b32 s15, s15, exec_lo
	s_mov_b32 s16, exec_lo
	ds_load_b32 v11, v10
	s_wait_dscnt 0x0
	v_cmpx_ne_u32_e64 v11, v8
	s_cbranch_execz .LBB19_11
; %bb.13:                               ;   in Loop: Header=BB19_12 Depth=3
	s_mov_b32 s17, exec_lo
	v_cmpx_ne_u32_e64 s30, v11
	s_xor_b32 s17, exec_lo, s17
; %bb.14:                               ;   in Loop: Header=BB19_12 Depth=3
	v_add_nc_u32_e32 v9, 1, v9
                                        ; implicit-def: $vgpr10
	s_delay_alu instid0(VALU_DEP_1)
	v_and_b32_e32 v9, 0x3fff, v9
; %bb.15:                               ;   in Loop: Header=BB19_12 Depth=3
	s_or_saveexec_b32 s17, s17
	s_mov_b32 s29, -1
	s_xor_b32 exec_lo, exec_lo, s17
	s_cbranch_execz .LBB19_10
; %bb.16:                               ;   in Loop: Header=BB19_12 Depth=3
	v_mov_b32_e32 v11, s30
	ds_cmpstore_rtn_b32 v10, v10, v8, v11
	s_wait_dscnt 0x0
	v_cmp_ne_u32_e32 vcc_lo, s30, v10
	s_or_not1_b32 s29, vcc_lo, exec_lo
	s_branch .LBB19_10
.LBB19_17:
	s_or_b32 exec_lo, exec_lo, s1
.LBB19_18:
	s_wait_xcnt 0x0
	s_bfe_u32 s0, s2, 0x10008
	s_delay_alu instid0(SALU_CYCLE_1)
	s_cmp_eq_u32 s0, 0
	s_cbranch_scc1 .LBB19_31
; %bb.19:
	s_wait_kmcnt 0x0
	s_ashr_i32 s29, s28, 31
	v_subrev_nc_u32_e32 v4, s27, v0
	s_lshl_b64 s[0:1], s[28:29], 2
	s_delay_alu instid0(SALU_CYCLE_1)
	s_add_nc_u64 s[0:1], s[8:9], s[0:1]
	s_load_b64 s[2:3], s[0:1], 0x0
	s_wait_xcnt 0x0
	s_mov_b32 s1, exec_lo
	s_wait_kmcnt 0x0
	v_add_nc_u32_e32 v4, s2, v4
	s_sub_co_i32 s0, s3, s27
	s_delay_alu instid0(VALU_DEP_1) | instid1(SALU_CYCLE_1)
	v_cmpx_gt_i32_e64 s0, v4
	s_cbranch_execz .LBB19_30
; %bb.20:
	s_mov_b32 s2, 0
	s_branch .LBB19_22
.LBB19_21:                              ;   in Loop: Header=BB19_22 Depth=1
	s_or_b32 exec_lo, exec_lo, s3
	v_add_nc_u32_e32 v4, 0x400, v4
	s_delay_alu instid0(VALU_DEP_1) | instskip(SKIP_1) | instid1(SALU_CYCLE_1)
	v_cmp_le_i32_e32 vcc_lo, s0, v4
	s_or_b32 s2, vcc_lo, s2
	s_and_not1_b32 exec_lo, exec_lo, s2
	s_cbranch_execz .LBB19_30
.LBB19_22:                              ; =>This Loop Header: Depth=1
                                        ;     Child Loop BB19_25 Depth 2
	global_load_b32 v5, v4, s[10:11] scale_offset
	s_mov_b32 s3, 0
                                        ; implicit-def: $sgpr4
	s_wait_loadcnt 0x0
	v_subrev_nc_u32_e32 v5, s27, v5
	s_delay_alu instid0(VALU_DEP_1) | instskip(NEXT) | instid1(VALU_DEP_1)
	v_mul_lo_u32 v6, 0x89, v5
	v_and_b32_e32 v6, 0x3fff, v6
	s_branch .LBB19_25
.LBB19_23:                              ;   in Loop: Header=BB19_25 Depth=2
	s_or_b32 exec_lo, exec_lo, s6
	s_delay_alu instid0(SALU_CYCLE_1) | instskip(SKIP_1) | instid1(SALU_CYCLE_1)
	s_and_not1_b32 s4, s4, exec_lo
	s_and_b32 s6, s7, exec_lo
	s_or_b32 s4, s4, s6
.LBB19_24:                              ;   in Loop: Header=BB19_25 Depth=2
	s_or_b32 exec_lo, exec_lo, s5
	s_xor_b32 s5, s4, -1
	s_delay_alu instid0(SALU_CYCLE_1) | instskip(NEXT) | instid1(SALU_CYCLE_1)
	s_and_b32 s5, exec_lo, s5
	s_or_b32 s3, s5, s3
	s_delay_alu instid0(SALU_CYCLE_1)
	s_and_not1_b32 exec_lo, exec_lo, s3
	s_cbranch_execz .LBB19_21
.LBB19_25:                              ;   Parent Loop BB19_22 Depth=1
                                        ; =>  This Inner Loop Header: Depth=2
	s_delay_alu instid0(VALU_DEP_1)
	v_lshl_add_u32 v7, v6, 2, 0
	s_and_not1_b32 s4, s4, exec_lo
	s_mov_b32 s5, exec_lo
	ds_load_b32 v8, v7
	s_wait_dscnt 0x0
	v_cmpx_ne_u32_e64 v8, v5
	s_cbranch_execz .LBB19_24
; %bb.26:                               ;   in Loop: Header=BB19_25 Depth=2
	s_mov_b32 s6, exec_lo
	v_cmpx_ne_u32_e64 s30, v8
	s_xor_b32 s6, exec_lo, s6
; %bb.27:                               ;   in Loop: Header=BB19_25 Depth=2
	v_add_nc_u32_e32 v6, 1, v6
                                        ; implicit-def: $vgpr7
	s_delay_alu instid0(VALU_DEP_1)
	v_and_b32_e32 v6, 0x3fff, v6
; %bb.28:                               ;   in Loop: Header=BB19_25 Depth=2
	s_or_saveexec_b32 s6, s6
	s_mov_b32 s7, -1
	s_xor_b32 exec_lo, exec_lo, s6
	s_cbranch_execz .LBB19_23
; %bb.29:                               ;   in Loop: Header=BB19_25 Depth=2
	v_mov_b32_e32 v8, s30
	ds_cmpstore_rtn_b32 v7, v7, v5, v8
	s_wait_dscnt 0x0
	v_cmp_ne_u32_e32 vcc_lo, s30, v7
	s_or_not1_b32 s7, vcc_lo, exec_lo
	s_branch .LBB19_23
.LBB19_30:
	s_or_b32 exec_lo, exec_lo, s1
.LBB19_31:
	v_mbcnt_lo_u32_b32 v4, -1, 0
	v_lshlrev_b32_e32 v2, 2, v2
	s_add_co_i32 s36, 0, 0x1003c
	v_cmp_lt_u32_e64 s0, 63, v0
	v_cmp_lt_u32_e64 s1, 0x7f, v0
	v_dual_mov_b32 v4, 0 :: v_dual_bitop2_b32 v6, 31, v4 bitop3:0x14
	v_add3_u32 v5, 0x10000, 0, v2
	v_cmp_lt_u32_e64 s2, 0xbf, v0
	v_cmp_lt_u32_e64 s3, 0xff, v0
	s_delay_alu instid0(VALU_DEP_4)
	v_lshrrev_b32_e64 v2, v6, -1
	v_cmp_lt_u32_e64 s4, 0x13f, v0
	v_cmp_lt_u32_e64 s5, 0x17f, v0
	;; [unrolled: 1-line block ×11, first 2 shown]
	v_mov_b32_e32 v6, s36
	s_mov_b32 s16, 0
	s_add_co_i32 s17, 0, 0x10000
	s_add_co_i32 s18, 0, 0x10004
	;; [unrolled: 1-line block ×3, first 2 shown]
	s_wait_kmcnt 0x0
	s_add_co_i32 s24, 0, 0x1000c
	s_add_co_i32 s25, 0, 0x10010
	;; [unrolled: 1-line block ×12, first 2 shown]
	s_barrier_signal -1
	s_barrier_wait -1
	v_cmp_eq_u32_e32 vcc_lo, 0x3ff, v0
	s_branch .LBB19_33
.LBB19_32:                              ;   in Loop: Header=BB19_33 Depth=1
	s_or_b32 exec_lo, exec_lo, s15
	s_wait_dscnt 0x0
	s_barrier_signal -1
	s_barrier_wait -1
	ds_load_b32 v7, v6
	v_add_nc_u32_e32 v3, 0x400, v3
	v_add_nc_u32_e32 v1, 0x1000, v1
	s_delay_alu instid0(VALU_DEP_2)
	v_cmp_lt_u32_e64 s15, 0x3bff, v3
	s_or_b32 s16, s15, s16
	s_wait_dscnt 0x0
	v_add_nc_u32_e32 v4, v7, v4
	s_and_not1_b32 exec_lo, exec_lo, s16
	s_cbranch_execz .LBB19_67
.LBB19_33:                              ; =>This Inner Loop Header: Depth=1
	ds_load_b32 v7, v1
	s_wait_dscnt 0x0
	s_barrier_signal -1
	s_barrier_wait -1
	v_cmp_gt_i32_e64 s15, s30, v7
	s_bcnt1_i32_b32 s41, s15
	s_delay_alu instid0(SALU_CYCLE_1) | instskip(NEXT) | instid1(VALU_DEP_1)
	v_dual_mov_b32 v9, s41 :: v_dual_bitop2_b32 v8, s15, v2 bitop3:0x40
	v_bcnt_u32_b32 v8, v8, 0
	ds_store_b32 v5, v9
	s_wait_dscnt 0x0
	s_barrier_signal -1
	s_barrier_wait -1
	s_and_saveexec_b32 s41, s0
	s_cbranch_execnz .LBB19_50
; %bb.34:                               ;   in Loop: Header=BB19_33 Depth=1
	s_or_b32 exec_lo, exec_lo, s41
	s_and_saveexec_b32 s41, s1
	s_cbranch_execnz .LBB19_51
.LBB19_35:                              ;   in Loop: Header=BB19_33 Depth=1
	s_or_b32 exec_lo, exec_lo, s41
	s_and_saveexec_b32 s41, s2
	s_cbranch_execnz .LBB19_52
.LBB19_36:                              ;   in Loop: Header=BB19_33 Depth=1
	s_or_b32 exec_lo, exec_lo, s41
	s_and_saveexec_b32 s41, s3
	s_cbranch_execnz .LBB19_53
.LBB19_37:                              ;   in Loop: Header=BB19_33 Depth=1
	s_or_b32 exec_lo, exec_lo, s41
	s_and_saveexec_b32 s41, s4
	s_cbranch_execnz .LBB19_54
.LBB19_38:                              ;   in Loop: Header=BB19_33 Depth=1
	s_or_b32 exec_lo, exec_lo, s41
	s_and_saveexec_b32 s41, s5
	s_cbranch_execnz .LBB19_55
.LBB19_39:                              ;   in Loop: Header=BB19_33 Depth=1
	s_or_b32 exec_lo, exec_lo, s41
	s_and_saveexec_b32 s41, s6
	s_cbranch_execnz .LBB19_56
.LBB19_40:                              ;   in Loop: Header=BB19_33 Depth=1
	s_or_b32 exec_lo, exec_lo, s41
	s_and_saveexec_b32 s41, s7
	s_cbranch_execnz .LBB19_57
.LBB19_41:                              ;   in Loop: Header=BB19_33 Depth=1
	s_or_b32 exec_lo, exec_lo, s41
	s_and_saveexec_b32 s41, s8
	s_cbranch_execnz .LBB19_58
.LBB19_42:                              ;   in Loop: Header=BB19_33 Depth=1
	s_or_b32 exec_lo, exec_lo, s41
	s_and_saveexec_b32 s41, s9
	s_cbranch_execnz .LBB19_59
.LBB19_43:                              ;   in Loop: Header=BB19_33 Depth=1
	s_or_b32 exec_lo, exec_lo, s41
	s_and_saveexec_b32 s41, s10
	s_cbranch_execnz .LBB19_60
.LBB19_44:                              ;   in Loop: Header=BB19_33 Depth=1
	s_or_b32 exec_lo, exec_lo, s41
	s_and_saveexec_b32 s41, s11
	s_cbranch_execnz .LBB19_61
.LBB19_45:                              ;   in Loop: Header=BB19_33 Depth=1
	s_or_b32 exec_lo, exec_lo, s41
	s_and_saveexec_b32 s41, s12
	s_cbranch_execnz .LBB19_62
.LBB19_46:                              ;   in Loop: Header=BB19_33 Depth=1
	s_or_b32 exec_lo, exec_lo, s41
	s_and_saveexec_b32 s41, s13
	s_cbranch_execnz .LBB19_63
.LBB19_47:                              ;   in Loop: Header=BB19_33 Depth=1
	s_or_b32 exec_lo, exec_lo, s41
	s_and_saveexec_b32 s41, s14
	s_cbranch_execnz .LBB19_64
.LBB19_48:                              ;   in Loop: Header=BB19_33 Depth=1
	s_or_b32 exec_lo, exec_lo, s41
	s_and_saveexec_b32 s41, s15
	s_cbranch_execnz .LBB19_65
.LBB19_49:                              ;   in Loop: Header=BB19_33 Depth=1
	s_or_b32 exec_lo, exec_lo, s41
	s_and_saveexec_b32 s15, vcc_lo
	s_cbranch_execz .LBB19_32
	s_branch .LBB19_66
.LBB19_50:                              ;   in Loop: Header=BB19_33 Depth=1
	v_mov_b32_e32 v9, s17
	ds_load_b32 v9, v9
	s_wait_dscnt 0x0
	v_add_nc_u32_e32 v8, v9, v8
	s_or_b32 exec_lo, exec_lo, s41
	s_and_saveexec_b32 s41, s1
	s_cbranch_execz .LBB19_35
.LBB19_51:                              ;   in Loop: Header=BB19_33 Depth=1
	v_mov_b32_e32 v9, s18
	ds_load_b32 v9, v9
	s_wait_dscnt 0x0
	v_add_nc_u32_e32 v8, v9, v8
	s_or_b32 exec_lo, exec_lo, s41
	s_and_saveexec_b32 s41, s2
	s_cbranch_execz .LBB19_36
.LBB19_52:                              ;   in Loop: Header=BB19_33 Depth=1
	v_mov_b32_e32 v9, s19
	ds_load_b32 v9, v9
	s_wait_dscnt 0x0
	v_add_nc_u32_e32 v8, v9, v8
	s_or_b32 exec_lo, exec_lo, s41
	s_and_saveexec_b32 s41, s3
	s_cbranch_execz .LBB19_37
.LBB19_53:                              ;   in Loop: Header=BB19_33 Depth=1
	v_mov_b32_e32 v9, s24
	ds_load_b32 v9, v9
	s_wait_dscnt 0x0
	v_add_nc_u32_e32 v8, v9, v8
	s_or_b32 exec_lo, exec_lo, s41
	s_and_saveexec_b32 s41, s4
	s_cbranch_execz .LBB19_38
.LBB19_54:                              ;   in Loop: Header=BB19_33 Depth=1
	v_mov_b32_e32 v9, s25
	ds_load_b32 v9, v9
	s_wait_dscnt 0x0
	v_add_nc_u32_e32 v8, v9, v8
	s_or_b32 exec_lo, exec_lo, s41
	s_and_saveexec_b32 s41, s5
	s_cbranch_execz .LBB19_39
.LBB19_55:                              ;   in Loop: Header=BB19_33 Depth=1
	v_mov_b32_e32 v9, s27
	ds_load_b32 v9, v9
	s_wait_dscnt 0x0
	v_add_nc_u32_e32 v8, v9, v8
	s_or_b32 exec_lo, exec_lo, s41
	s_and_saveexec_b32 s41, s6
	s_cbranch_execz .LBB19_40
.LBB19_56:                              ;   in Loop: Header=BB19_33 Depth=1
	v_mov_b32_e32 v9, s29
	ds_load_b32 v9, v9
	s_wait_dscnt 0x0
	v_add_nc_u32_e32 v8, v9, v8
	s_or_b32 exec_lo, exec_lo, s41
	s_and_saveexec_b32 s41, s7
	s_cbranch_execz .LBB19_41
.LBB19_57:                              ;   in Loop: Header=BB19_33 Depth=1
	v_mov_b32_e32 v9, s31
	ds_load_b32 v9, v9
	s_wait_dscnt 0x0
	v_add_nc_u32_e32 v8, v9, v8
	s_or_b32 exec_lo, exec_lo, s41
	s_and_saveexec_b32 s41, s8
	s_cbranch_execz .LBB19_42
.LBB19_58:                              ;   in Loop: Header=BB19_33 Depth=1
	v_mov_b32_e32 v9, s33
	ds_load_b32 v9, v9
	s_wait_dscnt 0x0
	v_add_nc_u32_e32 v8, v9, v8
	s_or_b32 exec_lo, exec_lo, s41
	s_and_saveexec_b32 s41, s9
	s_cbranch_execz .LBB19_43
.LBB19_59:                              ;   in Loop: Header=BB19_33 Depth=1
	v_mov_b32_e32 v9, s34
	ds_load_b32 v9, v9
	s_wait_dscnt 0x0
	v_add_nc_u32_e32 v8, v9, v8
	s_or_b32 exec_lo, exec_lo, s41
	s_and_saveexec_b32 s41, s10
	s_cbranch_execz .LBB19_44
.LBB19_60:                              ;   in Loop: Header=BB19_33 Depth=1
	v_mov_b32_e32 v9, s35
	ds_load_b32 v9, v9
	s_wait_dscnt 0x0
	v_add_nc_u32_e32 v8, v9, v8
	s_or_b32 exec_lo, exec_lo, s41
	s_and_saveexec_b32 s41, s11
	s_cbranch_execz .LBB19_45
.LBB19_61:                              ;   in Loop: Header=BB19_33 Depth=1
	v_mov_b32_e32 v9, s37
	ds_load_b32 v9, v9
	s_wait_dscnt 0x0
	v_add_nc_u32_e32 v8, v9, v8
	s_or_b32 exec_lo, exec_lo, s41
	s_and_saveexec_b32 s41, s12
	s_cbranch_execz .LBB19_46
.LBB19_62:                              ;   in Loop: Header=BB19_33 Depth=1
	v_mov_b32_e32 v9, s38
	ds_load_b32 v9, v9
	s_wait_dscnt 0x0
	v_add_nc_u32_e32 v8, v9, v8
	s_or_b32 exec_lo, exec_lo, s41
	s_and_saveexec_b32 s41, s13
	s_cbranch_execz .LBB19_47
.LBB19_63:                              ;   in Loop: Header=BB19_33 Depth=1
	v_mov_b32_e32 v9, s39
	ds_load_b32 v9, v9
	s_wait_dscnt 0x0
	v_add_nc_u32_e32 v8, v9, v8
	s_or_b32 exec_lo, exec_lo, s41
	s_and_saveexec_b32 s41, s14
	s_cbranch_execz .LBB19_48
.LBB19_64:                              ;   in Loop: Header=BB19_33 Depth=1
	v_mov_b32_e32 v9, s40
	ds_load_b32 v9, v9
	s_wait_dscnt 0x0
	v_add_nc_u32_e32 v8, v9, v8
	s_or_b32 exec_lo, exec_lo, s41
	s_and_saveexec_b32 s41, s15
	s_cbranch_execz .LBB19_49
.LBB19_65:                              ;   in Loop: Header=BB19_33 Depth=1
	v_lshlrev_b32_e32 v9, 2, v4
	s_delay_alu instid0(VALU_DEP_1) | instskip(NEXT) | instid1(VALU_DEP_1)
	v_dual_lshlrev_b32 v10, 2, v8 :: v_dual_add_nc_u32 v9, 0, v9
	v_add3_u32 v9, v9, v10, -4
	ds_store_b32 v9, v7
	s_or_b32 exec_lo, exec_lo, s41
	s_and_saveexec_b32 s15, vcc_lo
	s_cbranch_execz .LBB19_32
.LBB19_66:                              ;   in Loop: Header=BB19_33 Depth=1
	v_mov_b32_e32 v7, s36
	ds_store_b32 v7, v8
	s_branch .LBB19_32
.LBB19_67:
	s_or_b32 exec_lo, exec_lo, s16
	s_ashr_i32 s29, s28, 31
	s_delay_alu instid0(SALU_CYCLE_1) | instskip(NEXT) | instid1(SALU_CYCLE_1)
	s_lshl_b64 s[0:1], s[28:29], 2
	s_add_nc_u64 s[2:3], s[20:21], s[0:1]
	s_load_b64 s[0:1], s[2:3], 0x0
	s_wait_kmcnt 0x0
	s_sub_co_i32 s4, s1, s0
	s_mov_b32 s1, exec_lo
	v_cmpx_gt_i32_e64 s4, v0
	s_cbranch_execz .LBB19_81
; %bb.68:
	v_sub_co_u32 v1, s1, s4, 2
	s_sub_co_i32 s2, s0, s26
	s_xor_b32 s6, s1, -1
	s_and_b32 s5, s4, -2
	v_readfirstlane_b32 s3, v1
	s_lshr_b32 s0, s3, 1
	s_mov_b32 s3, 0
	s_add_co_i32 s0, s0, 1
	s_mov_b32 s11, s3
	s_and_b32 s1, s0, 7
	s_and_b32 s7, s0, -8
	s_cmp_lg_u32 s1, 0
	v_cmp_lt_u32_e64 s0, 13, v1
	s_cselect_b32 s8, -1, 0
	s_cmp_lg_u32 s4, s5
	s_cselect_b32 s9, -1, 0
	s_lshl_b32 s10, s1, 3
	s_branch .LBB19_70
.LBB19_69:                              ;   in Loop: Header=BB19_70 Depth=1
	v_add_nc_u32_e32 v0, 0x400, v0
	s_wait_dscnt 0x0
	v_add_nc_u32_e32 v1, s26, v1
	s_delay_alu instid0(VALU_DEP_2)
	v_cmp_le_i32_e32 vcc_lo, s4, v0
	global_store_b32 v2, v1, s[22:23] scale_offset
	s_or_b32 s11, vcc_lo, s11
	s_wait_xcnt 0x0
	s_and_not1_b32 exec_lo, exec_lo, s11
	s_cbranch_execz .LBB19_81
.LBB19_70:                              ; =>This Loop Header: Depth=1
                                        ;     Child Loop BB19_73 Depth 2
                                        ;     Child Loop BB19_76 Depth 2
	;; [unrolled: 1-line block ×3, first 2 shown]
	v_lshl_add_u32 v1, v0, 2, 0
	v_mov_b32_e32 v2, s2
	s_and_not1_b32 vcc_lo, exec_lo, s6
	s_mov_b32 s1, 0
	s_mov_b32 s12, -1
	ds_load_b32 v1, v1
	s_cbranch_vccnz .LBB19_78
; %bb.71:                               ;   in Loop: Header=BB19_70 Depth=1
	v_mov_b64_e32 v[2:3], s[2:3]
	s_and_not1_b32 vcc_lo, exec_lo, s0
	s_mov_b32 s12, 0
	s_cbranch_vccnz .LBB19_74
; %bb.72:                               ;   in Loop: Header=BB19_70 Depth=1
	v_dual_mov_b32 v2, s2 :: v_dual_mov_b32 v3, 0
	s_mov_b32 s13, 0
	s_mov_b32 s14, s7
.LBB19_73:                              ;   Parent Loop BB19_70 Depth=1
                                        ; =>  This Inner Loop Header: Depth=2
	v_mov_b32_e32 v18, s13
	s_add_co_i32 s14, s14, -8
	s_add_co_i32 s12, s12, 16
	s_add_co_i32 s13, s13, 64
	s_cmp_lg_u32 s14, 0
	ds_load_2addr_b32 v[4:5], v18 offset1:1
	ds_load_2addr_b32 v[6:7], v18 offset0:2 offset1:3
	ds_load_2addr_b32 v[8:9], v18 offset0:4 offset1:5
	;; [unrolled: 1-line block ×7, first 2 shown]
	s_wait_dscnt 0x7
	v_cmp_gt_i32_e32 vcc_lo, v1, v5
	s_wait_dscnt 0x5
	v_cmp_gt_i32_e64 s1, v1, v8
	v_cndmask_b32_e64 v5, 0, 1, vcc_lo
	v_cmp_gt_i32_e32 vcc_lo, v1, v4
	v_cndmask_b32_e64 v4, 0, 1, vcc_lo
	v_cmp_gt_i32_e32 vcc_lo, v1, v6
	v_cndmask_b32_e64 v6, 0, 1, s1
	v_cmp_gt_i32_e64 s1, v1, v9
	s_delay_alu instid0(VALU_DEP_4) | instskip(NEXT) | instid1(VALU_DEP_2)
	v_add_co_ci_u32_e64 v2, null, v2, v4, vcc_lo
	v_cndmask_b32_e64 v8, 0, 1, s1
	s_wait_dscnt 0x4
	v_cmp_gt_i32_e64 s1, v1, v11
	s_wait_dscnt 0x2
	v_cmp_gt_i32_e32 vcc_lo, v1, v14
	s_delay_alu instid0(VALU_DEP_2) | instskip(SKIP_4) | instid1(VALU_DEP_3)
	v_cndmask_b32_e64 v9, 0, 1, s1
	v_cmp_gt_i32_e64 s1, v1, v10
	v_add_co_ci_u32_e64 v2, null, v2, v6, vcc_lo
	s_wait_dscnt 0x1
	v_cmp_gt_i32_e32 vcc_lo, v1, v16
	v_cndmask_b32_e64 v10, 0, 1, s1
	v_cmp_gt_i32_e64 s1, v1, v12
	s_delay_alu instid0(VALU_DEP_2) | instskip(NEXT) | instid1(VALU_DEP_2)
	v_add_co_ci_u32_e64 v2, null, v2, v10, vcc_lo
	v_cndmask_b32_e64 v11, 0, 1, s1
	v_cmp_gt_i32_e64 s1, v1, v13
	s_wait_dscnt 0x0
	v_cmp_gt_i32_e32 vcc_lo, v1, v18
	s_delay_alu instid0(VALU_DEP_2) | instskip(SKIP_2) | instid1(VALU_DEP_2)
	v_cndmask_b32_e64 v12, 0, 1, s1
	v_cmp_gt_i32_e64 s1, v1, v7
	v_add_co_ci_u32_e64 v2, null, v2, v11, vcc_lo
	v_add_co_ci_u32_e64 v3, null, v3, v5, s1
	v_cmp_gt_i32_e64 s1, v1, v15
	s_delay_alu instid0(VALU_DEP_1) | instskip(SKIP_1) | instid1(VALU_DEP_1)
	v_add_co_ci_u32_e64 v3, null, v3, v8, s1
	v_cmp_gt_i32_e64 s1, v1, v17
	v_add_co_ci_u32_e64 v3, null, v3, v9, s1
	v_cmp_gt_i32_e64 s1, v1, v19
	s_delay_alu instid0(VALU_DEP_1)
	v_add_co_ci_u32_e64 v3, null, v3, v12, s1
	s_cbranch_scc1 .LBB19_73
.LBB19_74:                              ;   in Loop: Header=BB19_70 Depth=1
	s_and_not1_b32 vcc_lo, exec_lo, s8
	s_cbranch_vccnz .LBB19_77
; %bb.75:                               ;   in Loop: Header=BB19_70 Depth=1
	s_lshl_b32 s1, s12, 2
	s_mov_b32 s12, s10
	s_add_co_i32 s1, s1, 0
.LBB19_76:                              ;   Parent Loop BB19_70 Depth=1
                                        ; =>  This Inner Loop Header: Depth=2
	s_delay_alu instid0(SALU_CYCLE_1)
	v_mov_b32_e32 v4, s1
	s_add_co_i32 s12, s12, -8
	s_add_co_i32 s1, s1, 8
	s_cmp_lg_u32 s12, 0
	ds_load_2addr_b32 v[4:5], v4 offset1:1
	s_wait_dscnt 0x0
	v_cmp_gt_i32_e32 vcc_lo, v1, v5
	v_add_co_ci_u32_e64 v3, null, 0, v3, vcc_lo
	v_cmp_gt_i32_e32 vcc_lo, v1, v4
	v_add_co_ci_u32_e64 v2, null, 0, v2, vcc_lo
	s_cbranch_scc1 .LBB19_76
.LBB19_77:                              ;   in Loop: Header=BB19_70 Depth=1
	s_delay_alu instid0(VALU_DEP_1)
	v_add_nc_u32_e32 v2, v2, v3
	s_mov_b32 s1, s5
	s_mov_b32 s12, s9
.LBB19_78:                              ;   in Loop: Header=BB19_70 Depth=1
	s_delay_alu instid0(SALU_CYCLE_1)
	s_and_b32 vcc_lo, exec_lo, s12
	s_cbranch_vccz .LBB19_69
; %bb.79:                               ;   in Loop: Header=BB19_70 Depth=1
	s_lshl_b32 s12, s1, 2
	s_delay_alu instid0(SALU_CYCLE_1)
	s_add_co_i32 s12, s12, 0
.LBB19_80:                              ;   Parent Loop BB19_70 Depth=1
                                        ; =>  This Inner Loop Header: Depth=2
	s_delay_alu instid0(SALU_CYCLE_1)
	v_mov_b32_e32 v3, s12
	s_add_co_i32 s1, s1, 1
	s_add_co_i32 s12, s12, 4
	s_cmp_ge_i32 s1, s4
	ds_load_b32 v3, v3
	s_wait_dscnt 0x0
	v_cmp_gt_i32_e32 vcc_lo, v1, v3
	v_add_co_ci_u32_e64 v2, null, 0, v2, vcc_lo
	s_cbranch_scc0 .LBB19_80
	s_branch .LBB19_69
.LBB19_81:
	s_endpgm
	.section	.rodata,"a",@progbits
	.p2align	6, 0x0
	.amdhsa_kernel _ZN9rocsparseL35csrgemm_symbolic_fill_block_per_rowILj1024ELj64ELj16384ELj137ELj64EiiEEvT5_PKS1_S3_PKT4_S3_S6_S3_S6_S3_S6_PS1_21rocsparse_index_base_S8_S8_S8_bb
		.amdhsa_group_segment_fixed_size 0
		.amdhsa_private_segment_fixed_size 0
		.amdhsa_kernarg_size 108
		.amdhsa_user_sgpr_count 2
		.amdhsa_user_sgpr_dispatch_ptr 0
		.amdhsa_user_sgpr_queue_ptr 0
		.amdhsa_user_sgpr_kernarg_segment_ptr 1
		.amdhsa_user_sgpr_dispatch_id 0
		.amdhsa_user_sgpr_kernarg_preload_length 0
		.amdhsa_user_sgpr_kernarg_preload_offset 0
		.amdhsa_user_sgpr_private_segment_size 0
		.amdhsa_wavefront_size32 1
		.amdhsa_uses_dynamic_stack 0
		.amdhsa_enable_private_segment 0
		.amdhsa_system_sgpr_workgroup_id_x 1
		.amdhsa_system_sgpr_workgroup_id_y 0
		.amdhsa_system_sgpr_workgroup_id_z 0
		.amdhsa_system_sgpr_workgroup_info 0
		.amdhsa_system_vgpr_workitem_id 0
		.amdhsa_next_free_vgpr 20
		.amdhsa_next_free_sgpr 42
		.amdhsa_named_barrier_count 0
		.amdhsa_reserve_vcc 1
		.amdhsa_float_round_mode_32 0
		.amdhsa_float_round_mode_16_64 0
		.amdhsa_float_denorm_mode_32 3
		.amdhsa_float_denorm_mode_16_64 3
		.amdhsa_fp16_overflow 0
		.amdhsa_memory_ordered 1
		.amdhsa_forward_progress 1
		.amdhsa_inst_pref_size 25
		.amdhsa_round_robin_scheduling 0
		.amdhsa_exception_fp_ieee_invalid_op 0
		.amdhsa_exception_fp_denorm_src 0
		.amdhsa_exception_fp_ieee_div_zero 0
		.amdhsa_exception_fp_ieee_overflow 0
		.amdhsa_exception_fp_ieee_underflow 0
		.amdhsa_exception_fp_ieee_inexact 0
		.amdhsa_exception_int_div_zero 0
	.end_amdhsa_kernel
	.section	.text._ZN9rocsparseL35csrgemm_symbolic_fill_block_per_rowILj1024ELj64ELj16384ELj137ELj64EiiEEvT5_PKS1_S3_PKT4_S3_S6_S3_S6_S3_S6_PS1_21rocsparse_index_base_S8_S8_S8_bb,"axG",@progbits,_ZN9rocsparseL35csrgemm_symbolic_fill_block_per_rowILj1024ELj64ELj16384ELj137ELj64EiiEEvT5_PKS1_S3_PKT4_S3_S6_S3_S6_S3_S6_PS1_21rocsparse_index_base_S8_S8_S8_bb,comdat
.Lfunc_end19:
	.size	_ZN9rocsparseL35csrgemm_symbolic_fill_block_per_rowILj1024ELj64ELj16384ELj137ELj64EiiEEvT5_PKS1_S3_PKT4_S3_S6_S3_S6_S3_S6_PS1_21rocsparse_index_base_S8_S8_S8_bb, .Lfunc_end19-_ZN9rocsparseL35csrgemm_symbolic_fill_block_per_rowILj1024ELj64ELj16384ELj137ELj64EiiEEvT5_PKS1_S3_PKT4_S3_S6_S3_S6_S3_S6_PS1_21rocsparse_index_base_S8_S8_S8_bb
                                        ; -- End function
	.set _ZN9rocsparseL35csrgemm_symbolic_fill_block_per_rowILj1024ELj64ELj16384ELj137ELj64EiiEEvT5_PKS1_S3_PKT4_S3_S6_S3_S6_S3_S6_PS1_21rocsparse_index_base_S8_S8_S8_bb.num_vgpr, 20
	.set _ZN9rocsparseL35csrgemm_symbolic_fill_block_per_rowILj1024ELj64ELj16384ELj137ELj64EiiEEvT5_PKS1_S3_PKT4_S3_S6_S3_S6_S3_S6_PS1_21rocsparse_index_base_S8_S8_S8_bb.num_agpr, 0
	.set _ZN9rocsparseL35csrgemm_symbolic_fill_block_per_rowILj1024ELj64ELj16384ELj137ELj64EiiEEvT5_PKS1_S3_PKT4_S3_S6_S3_S6_S3_S6_PS1_21rocsparse_index_base_S8_S8_S8_bb.numbered_sgpr, 42
	.set _ZN9rocsparseL35csrgemm_symbolic_fill_block_per_rowILj1024ELj64ELj16384ELj137ELj64EiiEEvT5_PKS1_S3_PKT4_S3_S6_S3_S6_S3_S6_PS1_21rocsparse_index_base_S8_S8_S8_bb.num_named_barrier, 0
	.set _ZN9rocsparseL35csrgemm_symbolic_fill_block_per_rowILj1024ELj64ELj16384ELj137ELj64EiiEEvT5_PKS1_S3_PKT4_S3_S6_S3_S6_S3_S6_PS1_21rocsparse_index_base_S8_S8_S8_bb.private_seg_size, 0
	.set _ZN9rocsparseL35csrgemm_symbolic_fill_block_per_rowILj1024ELj64ELj16384ELj137ELj64EiiEEvT5_PKS1_S3_PKT4_S3_S6_S3_S6_S3_S6_PS1_21rocsparse_index_base_S8_S8_S8_bb.uses_vcc, 1
	.set _ZN9rocsparseL35csrgemm_symbolic_fill_block_per_rowILj1024ELj64ELj16384ELj137ELj64EiiEEvT5_PKS1_S3_PKT4_S3_S6_S3_S6_S3_S6_PS1_21rocsparse_index_base_S8_S8_S8_bb.uses_flat_scratch, 0
	.set _ZN9rocsparseL35csrgemm_symbolic_fill_block_per_rowILj1024ELj64ELj16384ELj137ELj64EiiEEvT5_PKS1_S3_PKT4_S3_S6_S3_S6_S3_S6_PS1_21rocsparse_index_base_S8_S8_S8_bb.has_dyn_sized_stack, 0
	.set _ZN9rocsparseL35csrgemm_symbolic_fill_block_per_rowILj1024ELj64ELj16384ELj137ELj64EiiEEvT5_PKS1_S3_PKT4_S3_S6_S3_S6_S3_S6_PS1_21rocsparse_index_base_S8_S8_S8_bb.has_recursion, 0
	.set _ZN9rocsparseL35csrgemm_symbolic_fill_block_per_rowILj1024ELj64ELj16384ELj137ELj64EiiEEvT5_PKS1_S3_PKT4_S3_S6_S3_S6_S3_S6_PS1_21rocsparse_index_base_S8_S8_S8_bb.has_indirect_call, 0
	.section	.AMDGPU.csdata,"",@progbits
; Kernel info:
; codeLenInByte = 3140
; TotalNumSgprs: 44
; NumVgprs: 20
; ScratchSize: 0
; MemoryBound: 0
; FloatMode: 240
; IeeeMode: 1
; LDSByteSize: 0 bytes/workgroup (compile time only)
; SGPRBlocks: 0
; VGPRBlocks: 1
; NumSGPRsForWavesPerEU: 44
; NumVGPRsForWavesPerEU: 20
; NamedBarCnt: 0
; Occupancy: 16
; WaveLimiterHint : 1
; COMPUTE_PGM_RSRC2:SCRATCH_EN: 0
; COMPUTE_PGM_RSRC2:USER_SGPR: 2
; COMPUTE_PGM_RSRC2:TRAP_HANDLER: 0
; COMPUTE_PGM_RSRC2:TGID_X_EN: 1
; COMPUTE_PGM_RSRC2:TGID_Y_EN: 0
; COMPUTE_PGM_RSRC2:TGID_Z_EN: 0
; COMPUTE_PGM_RSRC2:TIDIG_COMP_CNT: 0
	.section	.text._ZN9rocsparseL35csrgemm_symbolic_fill_block_per_rowILj1024ELj64ELj32768ELj137ELj32EiiEEvT5_PKS1_S3_PKT4_S3_S6_S3_S6_S3_S6_PS1_21rocsparse_index_base_S8_S8_S8_bb,"axG",@progbits,_ZN9rocsparseL35csrgemm_symbolic_fill_block_per_rowILj1024ELj64ELj32768ELj137ELj32EiiEEvT5_PKS1_S3_PKT4_S3_S6_S3_S6_S3_S6_PS1_21rocsparse_index_base_S8_S8_S8_bb,comdat
	.globl	_ZN9rocsparseL35csrgemm_symbolic_fill_block_per_rowILj1024ELj64ELj32768ELj137ELj32EiiEEvT5_PKS1_S3_PKT4_S3_S6_S3_S6_S3_S6_PS1_21rocsparse_index_base_S8_S8_S8_bb ; -- Begin function _ZN9rocsparseL35csrgemm_symbolic_fill_block_per_rowILj1024ELj64ELj32768ELj137ELj32EiiEEvT5_PKS1_S3_PKT4_S3_S6_S3_S6_S3_S6_PS1_21rocsparse_index_base_S8_S8_S8_bb
	.p2align	8
	.type	_ZN9rocsparseL35csrgemm_symbolic_fill_block_per_rowILj1024ELj64ELj32768ELj137ELj32EiiEEvT5_PKS1_S3_PKT4_S3_S6_S3_S6_S3_S6_PS1_21rocsparse_index_base_S8_S8_S8_bb,@function
_ZN9rocsparseL35csrgemm_symbolic_fill_block_per_rowILj1024ELj64ELj32768ELj137ELj32EiiEEvT5_PKS1_S3_PKT4_S3_S6_S3_S6_S3_S6_PS1_21rocsparse_index_base_S8_S8_S8_bb: ; @_ZN9rocsparseL35csrgemm_symbolic_fill_block_per_rowILj1024ELj64ELj32768ELj137ELj32EiiEEvT5_PKS1_S3_PKT4_S3_S6_S3_S6_S3_S6_PS1_21rocsparse_index_base_S8_S8_S8_bb
; %bb.0:
	s_clause 0x3
	s_load_b32 s33, s[0:1], 0x0
	s_load_b128 s[36:39], s[0:1], 0x48
	s_load_b256 s[4:11], s[0:1], 0x28
	s_load_b256 s[12:19], s[0:1], 0x8
	v_lshl_add_u32 v1, v0, 2, 0
	v_or_b32_e32 v3, 0xfffffc00, v0
	s_mov_b32 s2, 0
	s_delay_alu instid0(VALU_DEP_1)
	v_dual_mov_b32 v2, v1 :: v_dual_mov_b32 v5, v3
	s_wait_kmcnt 0x0
	v_mov_b32_e32 v4, s33
.LBB20_1:                               ; =>This Inner Loop Header: Depth=1
	s_delay_alu instid0(VALU_DEP_2) | instskip(SKIP_4) | instid1(SALU_CYCLE_1)
	v_add_nc_u32_e32 v5, 0x400, v5
	ds_store_b32 v2, v4
	v_add_nc_u32_e32 v2, 0x1000, v2
	v_cmp_lt_u32_e32 vcc_lo, 0x7bff, v5
	s_or_b32 s2, vcc_lo, s2
	s_and_not1_b32 exec_lo, exec_lo, s2
	s_cbranch_execnz .LBB20_1
; %bb.2:
	s_or_b32 exec_lo, exec_lo, s2
	s_load_b32 s2, s[0:1], 0x68
	s_wait_dscnt 0x0
	s_barrier_signal -1
	s_barrier_wait -1
	s_load_b32 s3, s[12:13], 0x0
	s_getreg_b32 s21, hwreg(HW_REG_IB_STS2, 6, 4)
	s_wait_kmcnt 0x0
	s_bitcmp1_b32 s2, 0
	s_cselect_b32 s12, -1, 0
	s_bfe_u32 s13, ttmp6, 0x4000c
	s_and_b32 s20, ttmp6, 15
	s_add_co_i32 s13, s13, 1
	s_delay_alu instid0(SALU_CYCLE_1) | instskip(NEXT) | instid1(SALU_CYCLE_1)
	s_mul_i32 s13, ttmp9, s13
	s_add_co_i32 s20, s20, s13
	s_cmp_eq_u32 s21, 0
	s_cselect_b32 s13, ttmp9, s20
	s_and_b32 vcc_lo, exec_lo, s12
	s_add_co_i32 s3, s3, s13
	s_load_b128 s[40:43], s[0:1], 0x58
	s_load_b32 s34, s[14:15], s3 offset:0x0 scale_offset
	s_cbranch_vccz .LBB20_18
; %bb.3:
	s_wait_kmcnt 0x0
	s_ashr_i32 s35, s34, 31
	v_lshrrev_b32_e32 v2, 6, v0
	s_lshl_b64 s[0:1], s[34:35], 2
	s_delay_alu instid0(SALU_CYCLE_1) | instskip(NEXT) | instid1(VALU_DEP_1)
	s_add_nc_u64 s[0:1], s[16:17], s[0:1]
	v_subrev_nc_u32_e32 v2, s40, v2
	s_load_b64 s[12:13], s[0:1], 0x0
	s_wait_xcnt 0x0
	s_mov_b32 s1, exec_lo
	s_wait_kmcnt 0x0
	v_add_nc_u32_e32 v2, s12, v2
	s_sub_co_i32 s0, s13, s40
	s_delay_alu instid0(VALU_DEP_1) | instid1(SALU_CYCLE_1)
	v_cmpx_gt_i32_e64 s0, v2
	s_cbranch_execz .LBB20_17
; %bb.4:
	v_and_b32_e32 v4, 63, v0
	s_mov_b32 s3, 0
	s_delay_alu instid0(VALU_DEP_1)
	v_subrev_nc_u32_e32 v4, s41, v4
	s_branch .LBB20_6
.LBB20_5:                               ;   in Loop: Header=BB20_6 Depth=1
	s_or_b32 exec_lo, exec_lo, s12
	v_add_nc_u32_e32 v2, 16, v2
	s_delay_alu instid0(VALU_DEP_1) | instskip(SKIP_1) | instid1(SALU_CYCLE_1)
	v_cmp_le_i32_e32 vcc_lo, s0, v2
	s_or_b32 s3, vcc_lo, s3
	s_and_not1_b32 exec_lo, exec_lo, s3
	s_cbranch_execz .LBB20_17
.LBB20_6:                               ; =>This Loop Header: Depth=1
                                        ;     Child Loop BB20_9 Depth 2
                                        ;       Child Loop BB20_12 Depth 3
	global_load_b32 v5, v2, s[18:19] scale_offset
	s_mov_b32 s12, exec_lo
	s_wait_loadcnt 0x0
	v_subrev_nc_u32_e32 v6, s40, v5
	s_delay_alu instid0(VALU_DEP_1) | instskip(NEXT) | instid1(VALU_DEP_1)
	v_ashrrev_i32_e32 v7, 31, v6
	v_lshl_add_u64 v[6:7], v[6:7], 2, s[4:5]
	global_load_b64 v[6:7], v[6:7], off
	s_wait_loadcnt 0x0
	v_subrev_nc_u32_e32 v5, s41, v7
	v_add_nc_u32_e32 v6, v6, v4
	s_delay_alu instid0(VALU_DEP_1)
	v_cmpx_lt_i32_e64 v6, v5
	s_cbranch_execz .LBB20_5
; %bb.7:                                ;   in Loop: Header=BB20_6 Depth=1
	s_mov_b32 s13, 0
	s_branch .LBB20_9
.LBB20_8:                               ;   in Loop: Header=BB20_9 Depth=2
	s_or_b32 exec_lo, exec_lo, s14
	v_add_nc_u32_e32 v6, 64, v6
	s_delay_alu instid0(VALU_DEP_1) | instskip(SKIP_1) | instid1(SALU_CYCLE_1)
	v_cmp_ge_i32_e32 vcc_lo, v6, v5
	s_or_b32 s13, vcc_lo, s13
	s_and_not1_b32 exec_lo, exec_lo, s13
	s_cbranch_execz .LBB20_5
.LBB20_9:                               ;   Parent Loop BB20_6 Depth=1
                                        ; =>  This Loop Header: Depth=2
                                        ;       Child Loop BB20_12 Depth 3
	global_load_b32 v7, v6, s[6:7] scale_offset
	s_mov_b32 s14, 0
                                        ; implicit-def: $sgpr15
	s_wait_loadcnt 0x0
	v_subrev_nc_u32_e32 v7, s41, v7
	s_delay_alu instid0(VALU_DEP_1) | instskip(NEXT) | instid1(VALU_DEP_1)
	v_mul_lo_u32 v8, 0x89, v7
	v_and_b32_e32 v8, 0x7fff, v8
	s_branch .LBB20_12
.LBB20_10:                              ;   in Loop: Header=BB20_12 Depth=3
	s_or_b32 exec_lo, exec_lo, s17
	s_delay_alu instid0(SALU_CYCLE_1) | instskip(SKIP_1) | instid1(SALU_CYCLE_1)
	s_and_not1_b32 s15, s15, exec_lo
	s_and_b32 s17, s20, exec_lo
	s_or_b32 s15, s15, s17
.LBB20_11:                              ;   in Loop: Header=BB20_12 Depth=3
	s_or_b32 exec_lo, exec_lo, s16
	s_xor_b32 s16, s15, -1
	s_delay_alu instid0(SALU_CYCLE_1) | instskip(NEXT) | instid1(SALU_CYCLE_1)
	s_and_b32 s16, exec_lo, s16
	s_or_b32 s14, s16, s14
	s_delay_alu instid0(SALU_CYCLE_1)
	s_and_not1_b32 exec_lo, exec_lo, s14
	s_cbranch_execz .LBB20_8
.LBB20_12:                              ;   Parent Loop BB20_6 Depth=1
                                        ;     Parent Loop BB20_9 Depth=2
                                        ; =>    This Inner Loop Header: Depth=3
	s_delay_alu instid0(VALU_DEP_1)
	v_lshl_add_u32 v9, v8, 2, 0
	s_and_not1_b32 s15, s15, exec_lo
	s_mov_b32 s16, exec_lo
	ds_load_b32 v10, v9
	s_wait_dscnt 0x0
	v_cmpx_ne_u32_e64 v10, v7
	s_cbranch_execz .LBB20_11
; %bb.13:                               ;   in Loop: Header=BB20_12 Depth=3
	s_mov_b32 s17, exec_lo
	v_cmpx_ne_u32_e64 s33, v10
	s_xor_b32 s17, exec_lo, s17
; %bb.14:                               ;   in Loop: Header=BB20_12 Depth=3
	v_add_nc_u32_e32 v8, 1, v8
                                        ; implicit-def: $vgpr9
	s_delay_alu instid0(VALU_DEP_1)
	v_and_b32_e32 v8, 0x7fff, v8
; %bb.15:                               ;   in Loop: Header=BB20_12 Depth=3
	s_or_saveexec_b32 s17, s17
	s_mov_b32 s20, -1
	s_xor_b32 exec_lo, exec_lo, s17
	s_cbranch_execz .LBB20_10
; %bb.16:                               ;   in Loop: Header=BB20_12 Depth=3
	v_mov_b32_e32 v10, s33
	ds_cmpstore_rtn_b32 v9, v9, v7, v10
	s_wait_dscnt 0x0
	v_cmp_ne_u32_e32 vcc_lo, s33, v9
	s_or_not1_b32 s20, vcc_lo, exec_lo
	s_branch .LBB20_10
.LBB20_17:
	s_or_b32 exec_lo, exec_lo, s1
.LBB20_18:
	s_wait_xcnt 0x0
	s_bfe_u32 s0, s2, 0x10008
	s_delay_alu instid0(SALU_CYCLE_1)
	s_cmp_eq_u32 s0, 0
	s_cbranch_scc1 .LBB20_31
; %bb.19:
	s_wait_kmcnt 0x0
	s_ashr_i32 s35, s34, 31
	v_subrev_nc_u32_e32 v2, s43, v0
	s_lshl_b64 s[0:1], s[34:35], 2
	s_delay_alu instid0(SALU_CYCLE_1)
	s_add_nc_u64 s[0:1], s[8:9], s[0:1]
	s_load_b64 s[2:3], s[0:1], 0x0
	s_wait_xcnt 0x0
	s_mov_b32 s1, exec_lo
	s_wait_kmcnt 0x0
	v_add_nc_u32_e32 v2, s2, v2
	s_sub_co_i32 s0, s3, s43
	s_delay_alu instid0(VALU_DEP_1) | instid1(SALU_CYCLE_1)
	v_cmpx_gt_i32_e64 s0, v2
	s_cbranch_execz .LBB20_30
; %bb.20:
	s_mov_b32 s2, 0
	s_branch .LBB20_22
.LBB20_21:                              ;   in Loop: Header=BB20_22 Depth=1
	s_or_b32 exec_lo, exec_lo, s3
	v_add_nc_u32_e32 v2, 0x400, v2
	s_delay_alu instid0(VALU_DEP_1) | instskip(SKIP_1) | instid1(SALU_CYCLE_1)
	v_cmp_le_i32_e32 vcc_lo, s0, v2
	s_or_b32 s2, vcc_lo, s2
	s_and_not1_b32 exec_lo, exec_lo, s2
	s_cbranch_execz .LBB20_30
.LBB20_22:                              ; =>This Loop Header: Depth=1
                                        ;     Child Loop BB20_25 Depth 2
	global_load_b32 v4, v2, s[10:11] scale_offset
	s_mov_b32 s3, 0
                                        ; implicit-def: $sgpr4
	s_wait_loadcnt 0x0
	v_subrev_nc_u32_e32 v4, s43, v4
	s_delay_alu instid0(VALU_DEP_1) | instskip(NEXT) | instid1(VALU_DEP_1)
	v_mul_lo_u32 v5, 0x89, v4
	v_and_b32_e32 v5, 0x7fff, v5
	s_branch .LBB20_25
.LBB20_23:                              ;   in Loop: Header=BB20_25 Depth=2
	s_or_b32 exec_lo, exec_lo, s6
	s_delay_alu instid0(SALU_CYCLE_1) | instskip(SKIP_1) | instid1(SALU_CYCLE_1)
	s_and_not1_b32 s4, s4, exec_lo
	s_and_b32 s6, s7, exec_lo
	s_or_b32 s4, s4, s6
.LBB20_24:                              ;   in Loop: Header=BB20_25 Depth=2
	s_or_b32 exec_lo, exec_lo, s5
	s_xor_b32 s5, s4, -1
	s_delay_alu instid0(SALU_CYCLE_1) | instskip(NEXT) | instid1(SALU_CYCLE_1)
	s_and_b32 s5, exec_lo, s5
	s_or_b32 s3, s5, s3
	s_delay_alu instid0(SALU_CYCLE_1)
	s_and_not1_b32 exec_lo, exec_lo, s3
	s_cbranch_execz .LBB20_21
.LBB20_25:                              ;   Parent Loop BB20_22 Depth=1
                                        ; =>  This Inner Loop Header: Depth=2
	s_delay_alu instid0(VALU_DEP_1)
	v_lshl_add_u32 v6, v5, 2, 0
	s_and_not1_b32 s4, s4, exec_lo
	s_mov_b32 s5, exec_lo
	ds_load_b32 v7, v6
	s_wait_dscnt 0x0
	v_cmpx_ne_u32_e64 v7, v4
	s_cbranch_execz .LBB20_24
; %bb.26:                               ;   in Loop: Header=BB20_25 Depth=2
	s_mov_b32 s6, exec_lo
	v_cmpx_ne_u32_e64 s33, v7
	s_xor_b32 s6, exec_lo, s6
; %bb.27:                               ;   in Loop: Header=BB20_25 Depth=2
	v_add_nc_u32_e32 v5, 1, v5
                                        ; implicit-def: $vgpr6
	s_delay_alu instid0(VALU_DEP_1)
	v_and_b32_e32 v5, 0x7fff, v5
; %bb.28:                               ;   in Loop: Header=BB20_25 Depth=2
	s_or_saveexec_b32 s6, s6
	s_mov_b32 s7, -1
	s_xor_b32 exec_lo, exec_lo, s6
	s_cbranch_execz .LBB20_23
; %bb.29:                               ;   in Loop: Header=BB20_25 Depth=2
	v_mov_b32_e32 v7, s33
	ds_cmpstore_rtn_b32 v6, v6, v4, v7
	s_wait_dscnt 0x0
	v_cmp_ne_u32_e32 vcc_lo, s33, v6
	s_or_not1_b32 s7, vcc_lo, exec_lo
	s_branch .LBB20_23
.LBB20_30:
	s_or_b32 exec_lo, exec_lo, s1
.LBB20_31:
	v_mbcnt_lo_u32_b32 v2, -1, 0
	v_lshrrev_b32_e32 v4, 3, v0
	v_cmp_lt_u32_e64 s0, 31, v0
	v_cmp_lt_u32_e64 s1, 63, v0
	;; [unrolled: 1-line block ×3, first 2 shown]
	v_xor_b32_e32 v2, 31, v2
	v_and_b32_e32 v5, 0x7c, v4
	v_mov_b32_e32 v4, 0
	v_cmp_lt_u32_e64 s3, 0x7f, v0
	v_cmp_lt_u32_e64 s4, 0x9f, v0
	v_lshrrev_b32_e64 v2, v2, -1
	v_add3_u32 v5, 0x20000, 0, v5
	v_cmp_lt_u32_e64 s5, 0xbf, v0
	v_cmp_lt_u32_e64 s6, 0xdf, v0
	;; [unrolled: 1-line block ×26, first 2 shown]
	s_mov_b32 s35, 0
	s_wait_kmcnt 0x0
	s_add_co_i32 s40, 0, 0x20000
	s_add_co_i32 s41, 0, 0x20004
	;; [unrolled: 1-line block ×32, first 2 shown]
	s_barrier_signal -1
	s_barrier_wait -1
	v_cmp_eq_u32_e32 vcc_lo, 0x3ff, v0
	s_branch .LBB20_33
.LBB20_32:                              ;   in Loop: Header=BB20_33 Depth=1
	s_or_b32 exec_lo, exec_lo, s31
	v_dual_mov_b32 v6, s72 :: v_dual_add_nc_u32 v3, 0x400, v3
	s_wait_dscnt 0x0
	s_barrier_signal -1
	s_barrier_wait -1
	ds_load_b32 v6, v6
	v_cmp_lt_u32_e64 s31, 0x7bff, v3
	v_add_nc_u32_e32 v1, 0x1000, v1
	s_or_b32 s35, s31, s35
	s_wait_dscnt 0x0
	v_add_nc_u32_e32 v4, v6, v4
	s_and_not1_b32 exec_lo, exec_lo, s35
	s_cbranch_execz .LBB20_99
.LBB20_33:                              ; =>This Inner Loop Header: Depth=1
	ds_load_b32 v6, v1
	s_wait_dscnt 0x0
	s_barrier_signal -1
	s_barrier_wait -1
	v_cmp_gt_i32_e64 s31, s33, v6
	s_bcnt1_i32_b32 s73, s31
	s_delay_alu instid0(SALU_CYCLE_1) | instskip(NEXT) | instid1(VALU_DEP_1)
	v_dual_mov_b32 v8, s73 :: v_dual_bitop2_b32 v7, s31, v2 bitop3:0x40
	v_bcnt_u32_b32 v7, v7, 0
	ds_store_b32 v5, v8
	s_wait_dscnt 0x0
	s_barrier_signal -1
	s_barrier_wait -1
	s_and_saveexec_b32 s73, s0
	s_cbranch_execnz .LBB20_66
; %bb.34:                               ;   in Loop: Header=BB20_33 Depth=1
	s_or_b32 exec_lo, exec_lo, s73
	s_and_saveexec_b32 s73, s1
	s_cbranch_execnz .LBB20_67
.LBB20_35:                              ;   in Loop: Header=BB20_33 Depth=1
	s_or_b32 exec_lo, exec_lo, s73
	s_and_saveexec_b32 s73, s2
	s_cbranch_execnz .LBB20_68
.LBB20_36:                              ;   in Loop: Header=BB20_33 Depth=1
	s_or_b32 exec_lo, exec_lo, s73
	s_and_saveexec_b32 s73, s3
	s_cbranch_execnz .LBB20_69
.LBB20_37:                              ;   in Loop: Header=BB20_33 Depth=1
	s_or_b32 exec_lo, exec_lo, s73
	s_and_saveexec_b32 s73, s4
	s_cbranch_execnz .LBB20_70
.LBB20_38:                              ;   in Loop: Header=BB20_33 Depth=1
	s_or_b32 exec_lo, exec_lo, s73
	s_and_saveexec_b32 s73, s5
	s_cbranch_execnz .LBB20_71
.LBB20_39:                              ;   in Loop: Header=BB20_33 Depth=1
	s_or_b32 exec_lo, exec_lo, s73
	s_and_saveexec_b32 s73, s6
	s_cbranch_execnz .LBB20_72
.LBB20_40:                              ;   in Loop: Header=BB20_33 Depth=1
	s_or_b32 exec_lo, exec_lo, s73
	s_and_saveexec_b32 s73, s7
	s_cbranch_execnz .LBB20_73
.LBB20_41:                              ;   in Loop: Header=BB20_33 Depth=1
	s_or_b32 exec_lo, exec_lo, s73
	s_and_saveexec_b32 s73, s8
	s_cbranch_execnz .LBB20_74
.LBB20_42:                              ;   in Loop: Header=BB20_33 Depth=1
	s_or_b32 exec_lo, exec_lo, s73
	s_and_saveexec_b32 s73, s9
	s_cbranch_execnz .LBB20_75
.LBB20_43:                              ;   in Loop: Header=BB20_33 Depth=1
	s_or_b32 exec_lo, exec_lo, s73
	s_and_saveexec_b32 s73, s10
	s_cbranch_execnz .LBB20_76
.LBB20_44:                              ;   in Loop: Header=BB20_33 Depth=1
	s_or_b32 exec_lo, exec_lo, s73
	s_and_saveexec_b32 s73, s11
	s_cbranch_execnz .LBB20_77
.LBB20_45:                              ;   in Loop: Header=BB20_33 Depth=1
	s_or_b32 exec_lo, exec_lo, s73
	s_and_saveexec_b32 s73, s12
	s_cbranch_execnz .LBB20_78
.LBB20_46:                              ;   in Loop: Header=BB20_33 Depth=1
	s_or_b32 exec_lo, exec_lo, s73
	s_and_saveexec_b32 s73, s13
	s_cbranch_execnz .LBB20_79
.LBB20_47:                              ;   in Loop: Header=BB20_33 Depth=1
	s_or_b32 exec_lo, exec_lo, s73
	s_and_saveexec_b32 s73, s14
	s_cbranch_execnz .LBB20_80
.LBB20_48:                              ;   in Loop: Header=BB20_33 Depth=1
	s_or_b32 exec_lo, exec_lo, s73
	s_and_saveexec_b32 s73, s15
	s_cbranch_execnz .LBB20_81
.LBB20_49:                              ;   in Loop: Header=BB20_33 Depth=1
	s_or_b32 exec_lo, exec_lo, s73
	s_and_saveexec_b32 s73, s16
	s_cbranch_execnz .LBB20_82
.LBB20_50:                              ;   in Loop: Header=BB20_33 Depth=1
	s_or_b32 exec_lo, exec_lo, s73
	s_and_saveexec_b32 s73, s17
	s_cbranch_execnz .LBB20_83
.LBB20_51:                              ;   in Loop: Header=BB20_33 Depth=1
	s_or_b32 exec_lo, exec_lo, s73
	s_and_saveexec_b32 s73, s18
	s_cbranch_execnz .LBB20_84
.LBB20_52:                              ;   in Loop: Header=BB20_33 Depth=1
	s_or_b32 exec_lo, exec_lo, s73
	s_and_saveexec_b32 s73, s19
	s_cbranch_execnz .LBB20_85
.LBB20_53:                              ;   in Loop: Header=BB20_33 Depth=1
	s_or_b32 exec_lo, exec_lo, s73
	s_and_saveexec_b32 s73, s20
	s_cbranch_execnz .LBB20_86
.LBB20_54:                              ;   in Loop: Header=BB20_33 Depth=1
	s_or_b32 exec_lo, exec_lo, s73
	s_and_saveexec_b32 s73, s21
	s_cbranch_execnz .LBB20_87
.LBB20_55:                              ;   in Loop: Header=BB20_33 Depth=1
	s_or_b32 exec_lo, exec_lo, s73
	s_and_saveexec_b32 s73, s22
	s_cbranch_execnz .LBB20_88
.LBB20_56:                              ;   in Loop: Header=BB20_33 Depth=1
	s_or_b32 exec_lo, exec_lo, s73
	s_and_saveexec_b32 s73, s23
	s_cbranch_execnz .LBB20_89
.LBB20_57:                              ;   in Loop: Header=BB20_33 Depth=1
	s_or_b32 exec_lo, exec_lo, s73
	s_and_saveexec_b32 s73, s24
	s_cbranch_execnz .LBB20_90
.LBB20_58:                              ;   in Loop: Header=BB20_33 Depth=1
	s_or_b32 exec_lo, exec_lo, s73
	s_and_saveexec_b32 s73, s25
	s_cbranch_execnz .LBB20_91
.LBB20_59:                              ;   in Loop: Header=BB20_33 Depth=1
	s_or_b32 exec_lo, exec_lo, s73
	s_and_saveexec_b32 s73, s26
	s_cbranch_execnz .LBB20_92
.LBB20_60:                              ;   in Loop: Header=BB20_33 Depth=1
	s_or_b32 exec_lo, exec_lo, s73
	s_and_saveexec_b32 s73, s27
	s_cbranch_execnz .LBB20_93
.LBB20_61:                              ;   in Loop: Header=BB20_33 Depth=1
	s_or_b32 exec_lo, exec_lo, s73
	s_and_saveexec_b32 s73, s28
	s_cbranch_execnz .LBB20_94
.LBB20_62:                              ;   in Loop: Header=BB20_33 Depth=1
	s_or_b32 exec_lo, exec_lo, s73
	s_and_saveexec_b32 s73, s29
	s_cbranch_execnz .LBB20_95
.LBB20_63:                              ;   in Loop: Header=BB20_33 Depth=1
	s_or_b32 exec_lo, exec_lo, s73
	s_and_saveexec_b32 s73, s30
	s_cbranch_execnz .LBB20_96
.LBB20_64:                              ;   in Loop: Header=BB20_33 Depth=1
	s_or_b32 exec_lo, exec_lo, s73
	s_and_saveexec_b32 s73, s31
	s_cbranch_execnz .LBB20_97
.LBB20_65:                              ;   in Loop: Header=BB20_33 Depth=1
	s_or_b32 exec_lo, exec_lo, s73
	s_and_saveexec_b32 s31, vcc_lo
	s_cbranch_execz .LBB20_32
	s_branch .LBB20_98
.LBB20_66:                              ;   in Loop: Header=BB20_33 Depth=1
	v_mov_b32_e32 v8, s40
	ds_load_b32 v8, v8
	s_wait_dscnt 0x0
	v_add_nc_u32_e32 v7, v8, v7
	s_or_b32 exec_lo, exec_lo, s73
	s_and_saveexec_b32 s73, s1
	s_cbranch_execz .LBB20_35
.LBB20_67:                              ;   in Loop: Header=BB20_33 Depth=1
	v_mov_b32_e32 v8, s41
	ds_load_b32 v8, v8
	s_wait_dscnt 0x0
	v_add_nc_u32_e32 v7, v8, v7
	s_or_b32 exec_lo, exec_lo, s73
	s_and_saveexec_b32 s73, s2
	s_cbranch_execz .LBB20_36
.LBB20_68:                              ;   in Loop: Header=BB20_33 Depth=1
	v_mov_b32_e32 v8, s43
	ds_load_b32 v8, v8
	s_wait_dscnt 0x0
	v_add_nc_u32_e32 v7, v8, v7
	s_or_b32 exec_lo, exec_lo, s73
	s_and_saveexec_b32 s73, s3
	s_cbranch_execz .LBB20_37
.LBB20_69:                              ;   in Loop: Header=BB20_33 Depth=1
	v_mov_b32_e32 v8, s44
	ds_load_b32 v8, v8
	s_wait_dscnt 0x0
	v_add_nc_u32_e32 v7, v8, v7
	s_or_b32 exec_lo, exec_lo, s73
	s_and_saveexec_b32 s73, s4
	s_cbranch_execz .LBB20_38
.LBB20_70:                              ;   in Loop: Header=BB20_33 Depth=1
	v_mov_b32_e32 v8, s45
	ds_load_b32 v8, v8
	s_wait_dscnt 0x0
	v_add_nc_u32_e32 v7, v8, v7
	s_or_b32 exec_lo, exec_lo, s73
	s_and_saveexec_b32 s73, s5
	s_cbranch_execz .LBB20_39
.LBB20_71:                              ;   in Loop: Header=BB20_33 Depth=1
	v_mov_b32_e32 v8, s46
	ds_load_b32 v8, v8
	s_wait_dscnt 0x0
	v_add_nc_u32_e32 v7, v8, v7
	s_or_b32 exec_lo, exec_lo, s73
	s_and_saveexec_b32 s73, s6
	s_cbranch_execz .LBB20_40
.LBB20_72:                              ;   in Loop: Header=BB20_33 Depth=1
	v_mov_b32_e32 v8, s47
	ds_load_b32 v8, v8
	s_wait_dscnt 0x0
	v_add_nc_u32_e32 v7, v8, v7
	s_or_b32 exec_lo, exec_lo, s73
	s_and_saveexec_b32 s73, s7
	s_cbranch_execz .LBB20_41
.LBB20_73:                              ;   in Loop: Header=BB20_33 Depth=1
	v_mov_b32_e32 v8, s48
	ds_load_b32 v8, v8
	s_wait_dscnt 0x0
	v_add_nc_u32_e32 v7, v8, v7
	s_or_b32 exec_lo, exec_lo, s73
	s_and_saveexec_b32 s73, s8
	s_cbranch_execz .LBB20_42
.LBB20_74:                              ;   in Loop: Header=BB20_33 Depth=1
	v_mov_b32_e32 v8, s49
	ds_load_b32 v8, v8
	s_wait_dscnt 0x0
	v_add_nc_u32_e32 v7, v8, v7
	s_or_b32 exec_lo, exec_lo, s73
	s_and_saveexec_b32 s73, s9
	s_cbranch_execz .LBB20_43
.LBB20_75:                              ;   in Loop: Header=BB20_33 Depth=1
	v_mov_b32_e32 v8, s50
	ds_load_b32 v8, v8
	s_wait_dscnt 0x0
	v_add_nc_u32_e32 v7, v8, v7
	s_or_b32 exec_lo, exec_lo, s73
	s_and_saveexec_b32 s73, s10
	s_cbranch_execz .LBB20_44
.LBB20_76:                              ;   in Loop: Header=BB20_33 Depth=1
	v_mov_b32_e32 v8, s51
	ds_load_b32 v8, v8
	s_wait_dscnt 0x0
	v_add_nc_u32_e32 v7, v8, v7
	s_or_b32 exec_lo, exec_lo, s73
	s_and_saveexec_b32 s73, s11
	s_cbranch_execz .LBB20_45
.LBB20_77:                              ;   in Loop: Header=BB20_33 Depth=1
	v_mov_b32_e32 v8, s52
	ds_load_b32 v8, v8
	s_wait_dscnt 0x0
	v_add_nc_u32_e32 v7, v8, v7
	s_or_b32 exec_lo, exec_lo, s73
	s_and_saveexec_b32 s73, s12
	s_cbranch_execz .LBB20_46
.LBB20_78:                              ;   in Loop: Header=BB20_33 Depth=1
	v_mov_b32_e32 v8, s53
	ds_load_b32 v8, v8
	s_wait_dscnt 0x0
	v_add_nc_u32_e32 v7, v8, v7
	s_or_b32 exec_lo, exec_lo, s73
	s_and_saveexec_b32 s73, s13
	s_cbranch_execz .LBB20_47
.LBB20_79:                              ;   in Loop: Header=BB20_33 Depth=1
	v_mov_b32_e32 v8, s54
	ds_load_b32 v8, v8
	s_wait_dscnt 0x0
	v_add_nc_u32_e32 v7, v8, v7
	s_or_b32 exec_lo, exec_lo, s73
	s_and_saveexec_b32 s73, s14
	s_cbranch_execz .LBB20_48
.LBB20_80:                              ;   in Loop: Header=BB20_33 Depth=1
	v_mov_b32_e32 v8, s55
	ds_load_b32 v8, v8
	s_wait_dscnt 0x0
	v_add_nc_u32_e32 v7, v8, v7
	s_or_b32 exec_lo, exec_lo, s73
	s_and_saveexec_b32 s73, s15
	s_cbranch_execz .LBB20_49
.LBB20_81:                              ;   in Loop: Header=BB20_33 Depth=1
	v_mov_b32_e32 v8, s56
	ds_load_b32 v8, v8
	s_wait_dscnt 0x0
	v_add_nc_u32_e32 v7, v8, v7
	s_or_b32 exec_lo, exec_lo, s73
	s_and_saveexec_b32 s73, s16
	s_cbranch_execz .LBB20_50
.LBB20_82:                              ;   in Loop: Header=BB20_33 Depth=1
	v_mov_b32_e32 v8, s57
	ds_load_b32 v8, v8
	s_wait_dscnt 0x0
	v_add_nc_u32_e32 v7, v8, v7
	s_or_b32 exec_lo, exec_lo, s73
	s_and_saveexec_b32 s73, s17
	s_cbranch_execz .LBB20_51
.LBB20_83:                              ;   in Loop: Header=BB20_33 Depth=1
	v_mov_b32_e32 v8, s58
	ds_load_b32 v8, v8
	s_wait_dscnt 0x0
	v_add_nc_u32_e32 v7, v8, v7
	s_or_b32 exec_lo, exec_lo, s73
	s_and_saveexec_b32 s73, s18
	s_cbranch_execz .LBB20_52
.LBB20_84:                              ;   in Loop: Header=BB20_33 Depth=1
	v_mov_b32_e32 v8, s59
	ds_load_b32 v8, v8
	s_wait_dscnt 0x0
	v_add_nc_u32_e32 v7, v8, v7
	s_or_b32 exec_lo, exec_lo, s73
	s_and_saveexec_b32 s73, s19
	s_cbranch_execz .LBB20_53
.LBB20_85:                              ;   in Loop: Header=BB20_33 Depth=1
	v_mov_b32_e32 v8, s60
	ds_load_b32 v8, v8
	s_wait_dscnt 0x0
	v_add_nc_u32_e32 v7, v8, v7
	s_or_b32 exec_lo, exec_lo, s73
	s_and_saveexec_b32 s73, s20
	s_cbranch_execz .LBB20_54
.LBB20_86:                              ;   in Loop: Header=BB20_33 Depth=1
	v_mov_b32_e32 v8, s61
	ds_load_b32 v8, v8
	s_wait_dscnt 0x0
	v_add_nc_u32_e32 v7, v8, v7
	s_or_b32 exec_lo, exec_lo, s73
	s_and_saveexec_b32 s73, s21
	s_cbranch_execz .LBB20_55
.LBB20_87:                              ;   in Loop: Header=BB20_33 Depth=1
	v_mov_b32_e32 v8, s62
	ds_load_b32 v8, v8
	s_wait_dscnt 0x0
	v_add_nc_u32_e32 v7, v8, v7
	s_or_b32 exec_lo, exec_lo, s73
	s_and_saveexec_b32 s73, s22
	s_cbranch_execz .LBB20_56
.LBB20_88:                              ;   in Loop: Header=BB20_33 Depth=1
	v_mov_b32_e32 v8, s63
	ds_load_b32 v8, v8
	s_wait_dscnt 0x0
	v_add_nc_u32_e32 v7, v8, v7
	s_or_b32 exec_lo, exec_lo, s73
	s_and_saveexec_b32 s73, s23
	s_cbranch_execz .LBB20_57
.LBB20_89:                              ;   in Loop: Header=BB20_33 Depth=1
	v_mov_b32_e32 v8, s64
	ds_load_b32 v8, v8
	s_wait_dscnt 0x0
	v_add_nc_u32_e32 v7, v8, v7
	s_or_b32 exec_lo, exec_lo, s73
	s_and_saveexec_b32 s73, s24
	s_cbranch_execz .LBB20_58
.LBB20_90:                              ;   in Loop: Header=BB20_33 Depth=1
	v_mov_b32_e32 v8, s65
	ds_load_b32 v8, v8
	s_wait_dscnt 0x0
	v_add_nc_u32_e32 v7, v8, v7
	s_or_b32 exec_lo, exec_lo, s73
	s_and_saveexec_b32 s73, s25
	s_cbranch_execz .LBB20_59
.LBB20_91:                              ;   in Loop: Header=BB20_33 Depth=1
	v_mov_b32_e32 v8, s66
	ds_load_b32 v8, v8
	s_wait_dscnt 0x0
	v_add_nc_u32_e32 v7, v8, v7
	s_or_b32 exec_lo, exec_lo, s73
	s_and_saveexec_b32 s73, s26
	s_cbranch_execz .LBB20_60
.LBB20_92:                              ;   in Loop: Header=BB20_33 Depth=1
	v_mov_b32_e32 v8, s67
	ds_load_b32 v8, v8
	s_wait_dscnt 0x0
	v_add_nc_u32_e32 v7, v8, v7
	s_or_b32 exec_lo, exec_lo, s73
	s_and_saveexec_b32 s73, s27
	s_cbranch_execz .LBB20_61
.LBB20_93:                              ;   in Loop: Header=BB20_33 Depth=1
	v_mov_b32_e32 v8, s68
	ds_load_b32 v8, v8
	s_wait_dscnt 0x0
	v_add_nc_u32_e32 v7, v8, v7
	s_or_b32 exec_lo, exec_lo, s73
	s_and_saveexec_b32 s73, s28
	s_cbranch_execz .LBB20_62
.LBB20_94:                              ;   in Loop: Header=BB20_33 Depth=1
	v_mov_b32_e32 v8, s69
	ds_load_b32 v8, v8
	s_wait_dscnt 0x0
	v_add_nc_u32_e32 v7, v8, v7
	s_or_b32 exec_lo, exec_lo, s73
	s_and_saveexec_b32 s73, s29
	s_cbranch_execz .LBB20_63
.LBB20_95:                              ;   in Loop: Header=BB20_33 Depth=1
	v_mov_b32_e32 v8, s70
	ds_load_b32 v8, v8
	s_wait_dscnt 0x0
	v_add_nc_u32_e32 v7, v8, v7
	s_or_b32 exec_lo, exec_lo, s73
	s_and_saveexec_b32 s73, s30
	s_cbranch_execz .LBB20_64
.LBB20_96:                              ;   in Loop: Header=BB20_33 Depth=1
	v_mov_b32_e32 v8, s71
	ds_load_b32 v8, v8
	s_wait_dscnt 0x0
	v_add_nc_u32_e32 v7, v8, v7
	s_or_b32 exec_lo, exec_lo, s73
	s_and_saveexec_b32 s73, s31
	s_cbranch_execz .LBB20_65
.LBB20_97:                              ;   in Loop: Header=BB20_33 Depth=1
	s_delay_alu instid0(VALU_DEP_1) | instskip(NEXT) | instid1(VALU_DEP_1)
	v_dual_lshlrev_b32 v8, 2, v4 :: v_dual_lshlrev_b32 v9, 2, v7
	v_add_nc_u32_e32 v8, 0, v8
	s_delay_alu instid0(VALU_DEP_1)
	v_add3_u32 v8, v8, v9, -4
	ds_store_b32 v8, v6
	s_or_b32 exec_lo, exec_lo, s73
	s_and_saveexec_b32 s31, vcc_lo
	s_cbranch_execz .LBB20_32
.LBB20_98:                              ;   in Loop: Header=BB20_33 Depth=1
	v_mov_b32_e32 v6, s72
	ds_store_b32 v6, v7
	s_branch .LBB20_32
.LBB20_99:
	s_or_b32 exec_lo, exec_lo, s35
	s_ashr_i32 s35, s34, 31
	s_delay_alu instid0(SALU_CYCLE_1) | instskip(NEXT) | instid1(SALU_CYCLE_1)
	s_lshl_b64 s[0:1], s[34:35], 2
	s_add_nc_u64 s[2:3], s[36:37], s[0:1]
	s_load_b64 s[0:1], s[2:3], 0x0
	s_wait_kmcnt 0x0
	s_sub_co_i32 s4, s1, s0
	s_mov_b32 s1, exec_lo
	v_cmpx_gt_i32_e64 s4, v0
	s_cbranch_execz .LBB20_113
; %bb.100:
	v_sub_co_u32 v1, s1, s4, 2
	s_sub_co_i32 s2, s0, s42
	s_xor_b32 s6, s1, -1
	s_and_b32 s5, s4, -2
	v_readfirstlane_b32 s3, v1
	s_lshr_b32 s0, s3, 1
	s_mov_b32 s3, 0
	s_add_co_i32 s0, s0, 1
	s_mov_b32 s11, s3
	s_and_b32 s1, s0, 7
	s_and_b32 s7, s0, -8
	s_cmp_lg_u32 s1, 0
	v_cmp_lt_u32_e64 s0, 13, v1
	s_cselect_b32 s8, -1, 0
	s_cmp_lg_u32 s4, s5
	s_cselect_b32 s9, -1, 0
	s_lshl_b32 s10, s1, 3
	s_branch .LBB20_102
.LBB20_101:                             ;   in Loop: Header=BB20_102 Depth=1
	v_add_nc_u32_e32 v0, 0x400, v0
	s_wait_dscnt 0x0
	v_add_nc_u32_e32 v1, s42, v1
	s_delay_alu instid0(VALU_DEP_2)
	v_cmp_le_i32_e32 vcc_lo, s4, v0
	global_store_b32 v2, v1, s[38:39] scale_offset
	s_or_b32 s11, vcc_lo, s11
	s_wait_xcnt 0x0
	s_and_not1_b32 exec_lo, exec_lo, s11
	s_cbranch_execz .LBB20_113
.LBB20_102:                             ; =>This Loop Header: Depth=1
                                        ;     Child Loop BB20_105 Depth 2
                                        ;     Child Loop BB20_108 Depth 2
	;; [unrolled: 1-line block ×3, first 2 shown]
	v_lshl_add_u32 v1, v0, 2, 0
	v_mov_b32_e32 v2, s2
	s_and_not1_b32 vcc_lo, exec_lo, s6
	s_mov_b32 s1, 0
	s_mov_b32 s12, -1
	ds_load_b32 v1, v1
	s_cbranch_vccnz .LBB20_110
; %bb.103:                              ;   in Loop: Header=BB20_102 Depth=1
	v_mov_b64_e32 v[2:3], s[2:3]
	s_and_not1_b32 vcc_lo, exec_lo, s0
	s_mov_b32 s12, 0
	s_cbranch_vccnz .LBB20_106
; %bb.104:                              ;   in Loop: Header=BB20_102 Depth=1
	v_dual_mov_b32 v2, s2 :: v_dual_mov_b32 v3, 0
	s_mov_b32 s13, 0
	s_mov_b32 s14, s7
.LBB20_105:                             ;   Parent Loop BB20_102 Depth=1
                                        ; =>  This Inner Loop Header: Depth=2
	v_mov_b32_e32 v18, s13
	s_add_co_i32 s14, s14, -8
	s_add_co_i32 s12, s12, 16
	s_add_co_i32 s13, s13, 64
	s_cmp_lg_u32 s14, 0
	ds_load_2addr_b32 v[4:5], v18 offset1:1
	ds_load_2addr_b32 v[6:7], v18 offset0:2 offset1:3
	ds_load_2addr_b32 v[8:9], v18 offset0:4 offset1:5
	;; [unrolled: 1-line block ×7, first 2 shown]
	s_wait_dscnt 0x7
	v_cmp_gt_i32_e32 vcc_lo, v1, v5
	s_wait_dscnt 0x5
	v_cmp_gt_i32_e64 s1, v1, v8
	v_cndmask_b32_e64 v5, 0, 1, vcc_lo
	v_cmp_gt_i32_e32 vcc_lo, v1, v4
	v_cndmask_b32_e64 v4, 0, 1, vcc_lo
	v_cmp_gt_i32_e32 vcc_lo, v1, v6
	v_cndmask_b32_e64 v6, 0, 1, s1
	v_cmp_gt_i32_e64 s1, v1, v9
	s_delay_alu instid0(VALU_DEP_4) | instskip(NEXT) | instid1(VALU_DEP_2)
	v_add_co_ci_u32_e64 v2, null, v2, v4, vcc_lo
	v_cndmask_b32_e64 v8, 0, 1, s1
	s_wait_dscnt 0x4
	v_cmp_gt_i32_e64 s1, v1, v11
	s_wait_dscnt 0x2
	v_cmp_gt_i32_e32 vcc_lo, v1, v14
	s_delay_alu instid0(VALU_DEP_2) | instskip(SKIP_4) | instid1(VALU_DEP_3)
	v_cndmask_b32_e64 v9, 0, 1, s1
	v_cmp_gt_i32_e64 s1, v1, v10
	v_add_co_ci_u32_e64 v2, null, v2, v6, vcc_lo
	s_wait_dscnt 0x1
	v_cmp_gt_i32_e32 vcc_lo, v1, v16
	v_cndmask_b32_e64 v10, 0, 1, s1
	v_cmp_gt_i32_e64 s1, v1, v12
	s_delay_alu instid0(VALU_DEP_2) | instskip(NEXT) | instid1(VALU_DEP_2)
	v_add_co_ci_u32_e64 v2, null, v2, v10, vcc_lo
	v_cndmask_b32_e64 v11, 0, 1, s1
	v_cmp_gt_i32_e64 s1, v1, v13
	s_wait_dscnt 0x0
	v_cmp_gt_i32_e32 vcc_lo, v1, v18
	s_delay_alu instid0(VALU_DEP_2) | instskip(SKIP_2) | instid1(VALU_DEP_2)
	v_cndmask_b32_e64 v12, 0, 1, s1
	v_cmp_gt_i32_e64 s1, v1, v7
	v_add_co_ci_u32_e64 v2, null, v2, v11, vcc_lo
	v_add_co_ci_u32_e64 v3, null, v3, v5, s1
	v_cmp_gt_i32_e64 s1, v1, v15
	s_delay_alu instid0(VALU_DEP_1) | instskip(SKIP_1) | instid1(VALU_DEP_1)
	v_add_co_ci_u32_e64 v3, null, v3, v8, s1
	v_cmp_gt_i32_e64 s1, v1, v17
	v_add_co_ci_u32_e64 v3, null, v3, v9, s1
	v_cmp_gt_i32_e64 s1, v1, v19
	s_delay_alu instid0(VALU_DEP_1)
	v_add_co_ci_u32_e64 v3, null, v3, v12, s1
	s_cbranch_scc1 .LBB20_105
.LBB20_106:                             ;   in Loop: Header=BB20_102 Depth=1
	s_and_not1_b32 vcc_lo, exec_lo, s8
	s_cbranch_vccnz .LBB20_109
; %bb.107:                              ;   in Loop: Header=BB20_102 Depth=1
	s_lshl_b32 s1, s12, 2
	s_mov_b32 s12, s10
	s_add_co_i32 s1, s1, 0
.LBB20_108:                             ;   Parent Loop BB20_102 Depth=1
                                        ; =>  This Inner Loop Header: Depth=2
	s_delay_alu instid0(SALU_CYCLE_1)
	v_mov_b32_e32 v4, s1
	s_add_co_i32 s12, s12, -8
	s_add_co_i32 s1, s1, 8
	s_cmp_lg_u32 s12, 0
	ds_load_2addr_b32 v[4:5], v4 offset1:1
	s_wait_dscnt 0x0
	v_cmp_gt_i32_e32 vcc_lo, v1, v5
	v_add_co_ci_u32_e64 v3, null, 0, v3, vcc_lo
	v_cmp_gt_i32_e32 vcc_lo, v1, v4
	v_add_co_ci_u32_e64 v2, null, 0, v2, vcc_lo
	s_cbranch_scc1 .LBB20_108
.LBB20_109:                             ;   in Loop: Header=BB20_102 Depth=1
	s_delay_alu instid0(VALU_DEP_1)
	v_add_nc_u32_e32 v2, v2, v3
	s_mov_b32 s1, s5
	s_mov_b32 s12, s9
.LBB20_110:                             ;   in Loop: Header=BB20_102 Depth=1
	s_delay_alu instid0(SALU_CYCLE_1)
	s_and_b32 vcc_lo, exec_lo, s12
	s_cbranch_vccz .LBB20_101
; %bb.111:                              ;   in Loop: Header=BB20_102 Depth=1
	s_lshl_b32 s12, s1, 2
	s_delay_alu instid0(SALU_CYCLE_1)
	s_add_co_i32 s12, s12, 0
.LBB20_112:                             ;   Parent Loop BB20_102 Depth=1
                                        ; =>  This Inner Loop Header: Depth=2
	s_delay_alu instid0(SALU_CYCLE_1)
	v_mov_b32_e32 v3, s12
	s_add_co_i32 s1, s1, 1
	s_add_co_i32 s12, s12, 4
	s_cmp_ge_i32 s1, s4
	ds_load_b32 v3, v3
	s_wait_dscnt 0x0
	v_cmp_gt_i32_e32 vcc_lo, v1, v3
	v_add_co_ci_u32_e64 v2, null, 0, v2, vcc_lo
	s_cbranch_scc0 .LBB20_112
	s_branch .LBB20_101
.LBB20_113:
	s_endpgm
	.section	.rodata,"a",@progbits
	.p2align	6, 0x0
	.amdhsa_kernel _ZN9rocsparseL35csrgemm_symbolic_fill_block_per_rowILj1024ELj64ELj32768ELj137ELj32EiiEEvT5_PKS1_S3_PKT4_S3_S6_S3_S6_S3_S6_PS1_21rocsparse_index_base_S8_S8_S8_bb
		.amdhsa_group_segment_fixed_size 0
		.amdhsa_private_segment_fixed_size 0
		.amdhsa_kernarg_size 108
		.amdhsa_user_sgpr_count 2
		.amdhsa_user_sgpr_dispatch_ptr 0
		.amdhsa_user_sgpr_queue_ptr 0
		.amdhsa_user_sgpr_kernarg_segment_ptr 1
		.amdhsa_user_sgpr_dispatch_id 0
		.amdhsa_user_sgpr_kernarg_preload_length 0
		.amdhsa_user_sgpr_kernarg_preload_offset 0
		.amdhsa_user_sgpr_private_segment_size 0
		.amdhsa_wavefront_size32 1
		.amdhsa_uses_dynamic_stack 0
		.amdhsa_enable_private_segment 0
		.amdhsa_system_sgpr_workgroup_id_x 1
		.amdhsa_system_sgpr_workgroup_id_y 0
		.amdhsa_system_sgpr_workgroup_id_z 0
		.amdhsa_system_sgpr_workgroup_info 0
		.amdhsa_system_vgpr_workitem_id 0
		.amdhsa_next_free_vgpr 20
		.amdhsa_next_free_sgpr 74
		.amdhsa_named_barrier_count 0
		.amdhsa_reserve_vcc 1
		.amdhsa_float_round_mode_32 0
		.amdhsa_float_round_mode_16_64 0
		.amdhsa_float_denorm_mode_32 3
		.amdhsa_float_denorm_mode_16_64 3
		.amdhsa_fp16_overflow 0
		.amdhsa_memory_ordered 1
		.amdhsa_forward_progress 1
		.amdhsa_inst_pref_size 33
		.amdhsa_round_robin_scheduling 0
		.amdhsa_exception_fp_ieee_invalid_op 0
		.amdhsa_exception_fp_denorm_src 0
		.amdhsa_exception_fp_ieee_div_zero 0
		.amdhsa_exception_fp_ieee_overflow 0
		.amdhsa_exception_fp_ieee_underflow 0
		.amdhsa_exception_fp_ieee_inexact 0
		.amdhsa_exception_int_div_zero 0
	.end_amdhsa_kernel
	.section	.text._ZN9rocsparseL35csrgemm_symbolic_fill_block_per_rowILj1024ELj64ELj32768ELj137ELj32EiiEEvT5_PKS1_S3_PKT4_S3_S6_S3_S6_S3_S6_PS1_21rocsparse_index_base_S8_S8_S8_bb,"axG",@progbits,_ZN9rocsparseL35csrgemm_symbolic_fill_block_per_rowILj1024ELj64ELj32768ELj137ELj32EiiEEvT5_PKS1_S3_PKT4_S3_S6_S3_S6_S3_S6_PS1_21rocsparse_index_base_S8_S8_S8_bb,comdat
.Lfunc_end20:
	.size	_ZN9rocsparseL35csrgemm_symbolic_fill_block_per_rowILj1024ELj64ELj32768ELj137ELj32EiiEEvT5_PKS1_S3_PKT4_S3_S6_S3_S6_S3_S6_PS1_21rocsparse_index_base_S8_S8_S8_bb, .Lfunc_end20-_ZN9rocsparseL35csrgemm_symbolic_fill_block_per_rowILj1024ELj64ELj32768ELj137ELj32EiiEEvT5_PKS1_S3_PKT4_S3_S6_S3_S6_S3_S6_PS1_21rocsparse_index_base_S8_S8_S8_bb
                                        ; -- End function
	.set _ZN9rocsparseL35csrgemm_symbolic_fill_block_per_rowILj1024ELj64ELj32768ELj137ELj32EiiEEvT5_PKS1_S3_PKT4_S3_S6_S3_S6_S3_S6_PS1_21rocsparse_index_base_S8_S8_S8_bb.num_vgpr, 20
	.set _ZN9rocsparseL35csrgemm_symbolic_fill_block_per_rowILj1024ELj64ELj32768ELj137ELj32EiiEEvT5_PKS1_S3_PKT4_S3_S6_S3_S6_S3_S6_PS1_21rocsparse_index_base_S8_S8_S8_bb.num_agpr, 0
	.set _ZN9rocsparseL35csrgemm_symbolic_fill_block_per_rowILj1024ELj64ELj32768ELj137ELj32EiiEEvT5_PKS1_S3_PKT4_S3_S6_S3_S6_S3_S6_PS1_21rocsparse_index_base_S8_S8_S8_bb.numbered_sgpr, 74
	.set _ZN9rocsparseL35csrgemm_symbolic_fill_block_per_rowILj1024ELj64ELj32768ELj137ELj32EiiEEvT5_PKS1_S3_PKT4_S3_S6_S3_S6_S3_S6_PS1_21rocsparse_index_base_S8_S8_S8_bb.num_named_barrier, 0
	.set _ZN9rocsparseL35csrgemm_symbolic_fill_block_per_rowILj1024ELj64ELj32768ELj137ELj32EiiEEvT5_PKS1_S3_PKT4_S3_S6_S3_S6_S3_S6_PS1_21rocsparse_index_base_S8_S8_S8_bb.private_seg_size, 0
	.set _ZN9rocsparseL35csrgemm_symbolic_fill_block_per_rowILj1024ELj64ELj32768ELj137ELj32EiiEEvT5_PKS1_S3_PKT4_S3_S6_S3_S6_S3_S6_PS1_21rocsparse_index_base_S8_S8_S8_bb.uses_vcc, 1
	.set _ZN9rocsparseL35csrgemm_symbolic_fill_block_per_rowILj1024ELj64ELj32768ELj137ELj32EiiEEvT5_PKS1_S3_PKT4_S3_S6_S3_S6_S3_S6_PS1_21rocsparse_index_base_S8_S8_S8_bb.uses_flat_scratch, 0
	.set _ZN9rocsparseL35csrgemm_symbolic_fill_block_per_rowILj1024ELj64ELj32768ELj137ELj32EiiEEvT5_PKS1_S3_PKT4_S3_S6_S3_S6_S3_S6_PS1_21rocsparse_index_base_S8_S8_S8_bb.has_dyn_sized_stack, 0
	.set _ZN9rocsparseL35csrgemm_symbolic_fill_block_per_rowILj1024ELj64ELj32768ELj137ELj32EiiEEvT5_PKS1_S3_PKT4_S3_S6_S3_S6_S3_S6_PS1_21rocsparse_index_base_S8_S8_S8_bb.has_recursion, 0
	.set _ZN9rocsparseL35csrgemm_symbolic_fill_block_per_rowILj1024ELj64ELj32768ELj137ELj32EiiEEvT5_PKS1_S3_PKT4_S3_S6_S3_S6_S3_S6_PS1_21rocsparse_index_base_S8_S8_S8_bb.has_indirect_call, 0
	.section	.AMDGPU.csdata,"",@progbits
; Kernel info:
; codeLenInByte = 4160
; TotalNumSgprs: 76
; NumVgprs: 20
; ScratchSize: 0
; MemoryBound: 0
; FloatMode: 240
; IeeeMode: 1
; LDSByteSize: 0 bytes/workgroup (compile time only)
; SGPRBlocks: 0
; VGPRBlocks: 1
; NumSGPRsForWavesPerEU: 76
; NumVGPRsForWavesPerEU: 20
; NamedBarCnt: 0
; Occupancy: 16
; WaveLimiterHint : 1
; COMPUTE_PGM_RSRC2:SCRATCH_EN: 0
; COMPUTE_PGM_RSRC2:USER_SGPR: 2
; COMPUTE_PGM_RSRC2:TRAP_HANDLER: 0
; COMPUTE_PGM_RSRC2:TGID_X_EN: 1
; COMPUTE_PGM_RSRC2:TGID_Y_EN: 0
; COMPUTE_PGM_RSRC2:TGID_Z_EN: 0
; COMPUTE_PGM_RSRC2:TIDIG_COMP_CNT: 0
	.section	.text._ZN9rocsparseL35csrgemm_symbolic_fill_block_per_rowILj1024ELj64ELj32768ELj137ELj64EiiEEvT5_PKS1_S3_PKT4_S3_S6_S3_S6_S3_S6_PS1_21rocsparse_index_base_S8_S8_S8_bb,"axG",@progbits,_ZN9rocsparseL35csrgemm_symbolic_fill_block_per_rowILj1024ELj64ELj32768ELj137ELj64EiiEEvT5_PKS1_S3_PKT4_S3_S6_S3_S6_S3_S6_PS1_21rocsparse_index_base_S8_S8_S8_bb,comdat
	.globl	_ZN9rocsparseL35csrgemm_symbolic_fill_block_per_rowILj1024ELj64ELj32768ELj137ELj64EiiEEvT5_PKS1_S3_PKT4_S3_S6_S3_S6_S3_S6_PS1_21rocsparse_index_base_S8_S8_S8_bb ; -- Begin function _ZN9rocsparseL35csrgemm_symbolic_fill_block_per_rowILj1024ELj64ELj32768ELj137ELj64EiiEEvT5_PKS1_S3_PKT4_S3_S6_S3_S6_S3_S6_PS1_21rocsparse_index_base_S8_S8_S8_bb
	.p2align	8
	.type	_ZN9rocsparseL35csrgemm_symbolic_fill_block_per_rowILj1024ELj64ELj32768ELj137ELj64EiiEEvT5_PKS1_S3_PKT4_S3_S6_S3_S6_S3_S6_PS1_21rocsparse_index_base_S8_S8_S8_bb,@function
_ZN9rocsparseL35csrgemm_symbolic_fill_block_per_rowILj1024ELj64ELj32768ELj137ELj64EiiEEvT5_PKS1_S3_PKT4_S3_S6_S3_S6_S3_S6_PS1_21rocsparse_index_base_S8_S8_S8_bb: ; @_ZN9rocsparseL35csrgemm_symbolic_fill_block_per_rowILj1024ELj64ELj32768ELj137ELj64EiiEEvT5_PKS1_S3_PKT4_S3_S6_S3_S6_S3_S6_PS1_21rocsparse_index_base_S8_S8_S8_bb
; %bb.0:
	s_clause 0x3
	s_load_b32 s30, s[0:1], 0x0
	s_load_b128 s[20:23], s[0:1], 0x48
	s_load_b256 s[4:11], s[0:1], 0x28
	s_load_b256 s[12:19], s[0:1], 0x8
	v_lshl_add_u32 v1, v0, 2, 0
	v_or_b32_e32 v3, 0xfffffc00, v0
	s_mov_b32 s2, 0
	s_delay_alu instid0(VALU_DEP_1)
	v_dual_mov_b32 v2, v1 :: v_dual_mov_b32 v5, v3
	s_wait_kmcnt 0x0
	v_mov_b32_e32 v4, s30
.LBB21_1:                               ; =>This Inner Loop Header: Depth=1
	s_delay_alu instid0(VALU_DEP_2) | instskip(SKIP_4) | instid1(SALU_CYCLE_1)
	v_add_nc_u32_e32 v5, 0x400, v5
	ds_store_b32 v2, v4
	v_add_nc_u32_e32 v2, 0x1000, v2
	v_cmp_lt_u32_e32 vcc_lo, 0x7bff, v5
	s_or_b32 s2, vcc_lo, s2
	s_and_not1_b32 exec_lo, exec_lo, s2
	s_cbranch_execnz .LBB21_1
; %bb.2:
	s_or_b32 exec_lo, exec_lo, s2
	s_load_b32 s2, s[0:1], 0x68
	s_wait_dscnt 0x0
	s_barrier_signal -1
	s_barrier_wait -1
	s_load_b32 s3, s[12:13], 0x0
	s_getreg_b32 s25, hwreg(HW_REG_IB_STS2, 6, 4)
	v_lshrrev_b32_e32 v2, 6, v0
	s_wait_kmcnt 0x0
	s_bitcmp1_b32 s2, 0
	s_cselect_b32 s12, -1, 0
	s_bfe_u32 s13, ttmp6, 0x4000c
	s_and_b32 s24, ttmp6, 15
	s_add_co_i32 s13, s13, 1
	s_delay_alu instid0(SALU_CYCLE_1) | instskip(NEXT) | instid1(SALU_CYCLE_1)
	s_mul_i32 s13, ttmp9, s13
	s_add_co_i32 s24, s24, s13
	s_cmp_eq_u32 s25, 0
	s_cselect_b32 s13, ttmp9, s24
	s_and_b32 vcc_lo, exec_lo, s12
	s_add_co_i32 s3, s3, s13
	s_load_b128 s[24:27], s[0:1], 0x58
	s_load_b32 s28, s[14:15], s3 offset:0x0 scale_offset
	s_cbranch_vccz .LBB21_18
; %bb.3:
	s_wait_kmcnt 0x0
	s_ashr_i32 s29, s28, 31
	v_subrev_nc_u32_e32 v4, s24, v2
	s_lshl_b64 s[0:1], s[28:29], 2
	s_delay_alu instid0(SALU_CYCLE_1)
	s_add_nc_u64 s[0:1], s[16:17], s[0:1]
	s_load_b64 s[12:13], s[0:1], 0x0
	s_wait_xcnt 0x0
	s_mov_b32 s1, exec_lo
	s_wait_kmcnt 0x0
	v_add_nc_u32_e32 v4, s12, v4
	s_sub_co_i32 s0, s13, s24
	s_delay_alu instid0(VALU_DEP_1) | instid1(SALU_CYCLE_1)
	v_cmpx_gt_i32_e64 s0, v4
	s_cbranch_execz .LBB21_17
; %bb.4:
	v_and_b32_e32 v5, 63, v0
	s_mov_b32 s3, 0
	s_delay_alu instid0(VALU_DEP_1)
	v_subrev_nc_u32_e32 v5, s25, v5
	s_branch .LBB21_6
.LBB21_5:                               ;   in Loop: Header=BB21_6 Depth=1
	s_or_b32 exec_lo, exec_lo, s12
	v_add_nc_u32_e32 v4, 16, v4
	s_delay_alu instid0(VALU_DEP_1) | instskip(SKIP_1) | instid1(SALU_CYCLE_1)
	v_cmp_le_i32_e32 vcc_lo, s0, v4
	s_or_b32 s3, vcc_lo, s3
	s_and_not1_b32 exec_lo, exec_lo, s3
	s_cbranch_execz .LBB21_17
.LBB21_6:                               ; =>This Loop Header: Depth=1
                                        ;     Child Loop BB21_9 Depth 2
                                        ;       Child Loop BB21_12 Depth 3
	global_load_b32 v6, v4, s[18:19] scale_offset
	s_mov_b32 s12, exec_lo
	s_wait_loadcnt 0x0
	v_subrev_nc_u32_e32 v6, s24, v6
	s_delay_alu instid0(VALU_DEP_1) | instskip(NEXT) | instid1(VALU_DEP_1)
	v_ashrrev_i32_e32 v7, 31, v6
	v_lshl_add_u64 v[6:7], v[6:7], 2, s[4:5]
	global_load_b64 v[8:9], v[6:7], off
	s_wait_loadcnt 0x0
	v_subrev_nc_u32_e32 v6, s25, v9
	v_add_nc_u32_e32 v7, v8, v5
	s_delay_alu instid0(VALU_DEP_1)
	v_cmpx_lt_i32_e64 v7, v6
	s_cbranch_execz .LBB21_5
; %bb.7:                                ;   in Loop: Header=BB21_6 Depth=1
	s_mov_b32 s13, 0
	s_branch .LBB21_9
.LBB21_8:                               ;   in Loop: Header=BB21_9 Depth=2
	s_or_b32 exec_lo, exec_lo, s14
	v_add_nc_u32_e32 v7, 64, v7
	s_delay_alu instid0(VALU_DEP_1) | instskip(SKIP_1) | instid1(SALU_CYCLE_1)
	v_cmp_ge_i32_e32 vcc_lo, v7, v6
	s_or_b32 s13, vcc_lo, s13
	s_and_not1_b32 exec_lo, exec_lo, s13
	s_cbranch_execz .LBB21_5
.LBB21_9:                               ;   Parent Loop BB21_6 Depth=1
                                        ; =>  This Loop Header: Depth=2
                                        ;       Child Loop BB21_12 Depth 3
	global_load_b32 v8, v7, s[6:7] scale_offset
	s_mov_b32 s14, 0
                                        ; implicit-def: $sgpr15
	s_wait_loadcnt 0x0
	v_subrev_nc_u32_e32 v8, s25, v8
	s_delay_alu instid0(VALU_DEP_1) | instskip(NEXT) | instid1(VALU_DEP_1)
	v_mul_lo_u32 v9, 0x89, v8
	v_and_b32_e32 v9, 0x7fff, v9
	s_branch .LBB21_12
.LBB21_10:                              ;   in Loop: Header=BB21_12 Depth=3
	s_or_b32 exec_lo, exec_lo, s17
	s_delay_alu instid0(SALU_CYCLE_1) | instskip(SKIP_1) | instid1(SALU_CYCLE_1)
	s_and_not1_b32 s15, s15, exec_lo
	s_and_b32 s17, s29, exec_lo
	s_or_b32 s15, s15, s17
.LBB21_11:                              ;   in Loop: Header=BB21_12 Depth=3
	s_or_b32 exec_lo, exec_lo, s16
	s_xor_b32 s16, s15, -1
	s_delay_alu instid0(SALU_CYCLE_1) | instskip(NEXT) | instid1(SALU_CYCLE_1)
	s_and_b32 s16, exec_lo, s16
	s_or_b32 s14, s16, s14
	s_delay_alu instid0(SALU_CYCLE_1)
	s_and_not1_b32 exec_lo, exec_lo, s14
	s_cbranch_execz .LBB21_8
.LBB21_12:                              ;   Parent Loop BB21_6 Depth=1
                                        ;     Parent Loop BB21_9 Depth=2
                                        ; =>    This Inner Loop Header: Depth=3
	s_delay_alu instid0(VALU_DEP_1)
	v_lshl_add_u32 v10, v9, 2, 0
	s_and_not1_b32 s15, s15, exec_lo
	s_mov_b32 s16, exec_lo
	ds_load_b32 v11, v10
	s_wait_dscnt 0x0
	v_cmpx_ne_u32_e64 v11, v8
	s_cbranch_execz .LBB21_11
; %bb.13:                               ;   in Loop: Header=BB21_12 Depth=3
	s_mov_b32 s17, exec_lo
	v_cmpx_ne_u32_e64 s30, v11
	s_xor_b32 s17, exec_lo, s17
; %bb.14:                               ;   in Loop: Header=BB21_12 Depth=3
	v_add_nc_u32_e32 v9, 1, v9
                                        ; implicit-def: $vgpr10
	s_delay_alu instid0(VALU_DEP_1)
	v_and_b32_e32 v9, 0x7fff, v9
; %bb.15:                               ;   in Loop: Header=BB21_12 Depth=3
	s_or_saveexec_b32 s17, s17
	s_mov_b32 s29, -1
	s_xor_b32 exec_lo, exec_lo, s17
	s_cbranch_execz .LBB21_10
; %bb.16:                               ;   in Loop: Header=BB21_12 Depth=3
	v_mov_b32_e32 v11, s30
	ds_cmpstore_rtn_b32 v10, v10, v8, v11
	s_wait_dscnt 0x0
	v_cmp_ne_u32_e32 vcc_lo, s30, v10
	s_or_not1_b32 s29, vcc_lo, exec_lo
	s_branch .LBB21_10
.LBB21_17:
	s_or_b32 exec_lo, exec_lo, s1
.LBB21_18:
	s_wait_xcnt 0x0
	s_bfe_u32 s0, s2, 0x10008
	s_delay_alu instid0(SALU_CYCLE_1)
	s_cmp_eq_u32 s0, 0
	s_cbranch_scc1 .LBB21_31
; %bb.19:
	s_wait_kmcnt 0x0
	s_ashr_i32 s29, s28, 31
	v_subrev_nc_u32_e32 v4, s27, v0
	s_lshl_b64 s[0:1], s[28:29], 2
	s_delay_alu instid0(SALU_CYCLE_1)
	s_add_nc_u64 s[0:1], s[8:9], s[0:1]
	s_load_b64 s[2:3], s[0:1], 0x0
	s_wait_xcnt 0x0
	s_mov_b32 s1, exec_lo
	s_wait_kmcnt 0x0
	v_add_nc_u32_e32 v4, s2, v4
	s_sub_co_i32 s0, s3, s27
	s_delay_alu instid0(VALU_DEP_1) | instid1(SALU_CYCLE_1)
	v_cmpx_gt_i32_e64 s0, v4
	s_cbranch_execz .LBB21_30
; %bb.20:
	s_mov_b32 s2, 0
	s_branch .LBB21_22
.LBB21_21:                              ;   in Loop: Header=BB21_22 Depth=1
	s_or_b32 exec_lo, exec_lo, s3
	v_add_nc_u32_e32 v4, 0x400, v4
	s_delay_alu instid0(VALU_DEP_1) | instskip(SKIP_1) | instid1(SALU_CYCLE_1)
	v_cmp_le_i32_e32 vcc_lo, s0, v4
	s_or_b32 s2, vcc_lo, s2
	s_and_not1_b32 exec_lo, exec_lo, s2
	s_cbranch_execz .LBB21_30
.LBB21_22:                              ; =>This Loop Header: Depth=1
                                        ;     Child Loop BB21_25 Depth 2
	global_load_b32 v5, v4, s[10:11] scale_offset
	s_mov_b32 s3, 0
                                        ; implicit-def: $sgpr4
	s_wait_loadcnt 0x0
	v_subrev_nc_u32_e32 v5, s27, v5
	s_delay_alu instid0(VALU_DEP_1) | instskip(NEXT) | instid1(VALU_DEP_1)
	v_mul_lo_u32 v6, 0x89, v5
	v_and_b32_e32 v6, 0x7fff, v6
	s_branch .LBB21_25
.LBB21_23:                              ;   in Loop: Header=BB21_25 Depth=2
	s_or_b32 exec_lo, exec_lo, s6
	s_delay_alu instid0(SALU_CYCLE_1) | instskip(SKIP_1) | instid1(SALU_CYCLE_1)
	s_and_not1_b32 s4, s4, exec_lo
	s_and_b32 s6, s7, exec_lo
	s_or_b32 s4, s4, s6
.LBB21_24:                              ;   in Loop: Header=BB21_25 Depth=2
	s_or_b32 exec_lo, exec_lo, s5
	s_xor_b32 s5, s4, -1
	s_delay_alu instid0(SALU_CYCLE_1) | instskip(NEXT) | instid1(SALU_CYCLE_1)
	s_and_b32 s5, exec_lo, s5
	s_or_b32 s3, s5, s3
	s_delay_alu instid0(SALU_CYCLE_1)
	s_and_not1_b32 exec_lo, exec_lo, s3
	s_cbranch_execz .LBB21_21
.LBB21_25:                              ;   Parent Loop BB21_22 Depth=1
                                        ; =>  This Inner Loop Header: Depth=2
	s_delay_alu instid0(VALU_DEP_1)
	v_lshl_add_u32 v7, v6, 2, 0
	s_and_not1_b32 s4, s4, exec_lo
	s_mov_b32 s5, exec_lo
	ds_load_b32 v8, v7
	s_wait_dscnt 0x0
	v_cmpx_ne_u32_e64 v8, v5
	s_cbranch_execz .LBB21_24
; %bb.26:                               ;   in Loop: Header=BB21_25 Depth=2
	s_mov_b32 s6, exec_lo
	v_cmpx_ne_u32_e64 s30, v8
	s_xor_b32 s6, exec_lo, s6
; %bb.27:                               ;   in Loop: Header=BB21_25 Depth=2
	v_add_nc_u32_e32 v6, 1, v6
                                        ; implicit-def: $vgpr7
	s_delay_alu instid0(VALU_DEP_1)
	v_and_b32_e32 v6, 0x7fff, v6
; %bb.28:                               ;   in Loop: Header=BB21_25 Depth=2
	s_or_saveexec_b32 s6, s6
	s_mov_b32 s7, -1
	s_xor_b32 exec_lo, exec_lo, s6
	s_cbranch_execz .LBB21_23
; %bb.29:                               ;   in Loop: Header=BB21_25 Depth=2
	v_mov_b32_e32 v8, s30
	ds_cmpstore_rtn_b32 v7, v7, v5, v8
	s_wait_dscnt 0x0
	v_cmp_ne_u32_e32 vcc_lo, s30, v7
	s_or_not1_b32 s7, vcc_lo, exec_lo
	s_branch .LBB21_23
.LBB21_30:
	s_or_b32 exec_lo, exec_lo, s1
.LBB21_31:
	v_mbcnt_lo_u32_b32 v4, -1, 0
	v_lshlrev_b32_e32 v2, 2, v2
	s_add_co_i32 s36, 0, 0x2003c
	v_cmp_lt_u32_e64 s0, 63, v0
	v_cmp_lt_u32_e64 s1, 0x7f, v0
	v_dual_mov_b32 v4, 0 :: v_dual_bitop2_b32 v6, 31, v4 bitop3:0x14
	v_add3_u32 v5, 0x20000, 0, v2
	v_cmp_lt_u32_e64 s2, 0xbf, v0
	v_cmp_lt_u32_e64 s3, 0xff, v0
	s_delay_alu instid0(VALU_DEP_4)
	v_lshrrev_b32_e64 v2, v6, -1
	v_cmp_lt_u32_e64 s4, 0x13f, v0
	v_cmp_lt_u32_e64 s5, 0x17f, v0
	;; [unrolled: 1-line block ×11, first 2 shown]
	v_mov_b32_e32 v6, s36
	s_mov_b32 s16, 0
	s_add_co_i32 s17, 0, 0x20000
	s_add_co_i32 s18, 0, 0x20004
	;; [unrolled: 1-line block ×3, first 2 shown]
	s_wait_kmcnt 0x0
	s_add_co_i32 s24, 0, 0x2000c
	s_add_co_i32 s25, 0, 0x20010
	s_add_co_i32 s27, 0, 0x20014
	s_add_co_i32 s29, 0, 0x20018
	s_add_co_i32 s31, 0, 0x2001c
	s_add_co_i32 s33, 0, 0x20020
	s_add_co_i32 s34, 0, 0x20024
	s_add_co_i32 s35, 0, 0x20028
	s_add_co_i32 s37, 0, 0x2002c
	s_add_co_i32 s38, 0, 0x20030
	s_add_co_i32 s39, 0, 0x20034
	s_add_co_i32 s40, 0, 0x20038
	s_barrier_signal -1
	s_barrier_wait -1
	v_cmp_eq_u32_e32 vcc_lo, 0x3ff, v0
	s_branch .LBB21_33
.LBB21_32:                              ;   in Loop: Header=BB21_33 Depth=1
	s_or_b32 exec_lo, exec_lo, s15
	s_wait_dscnt 0x0
	s_barrier_signal -1
	s_barrier_wait -1
	ds_load_b32 v7, v6
	v_add_nc_u32_e32 v3, 0x400, v3
	v_add_nc_u32_e32 v1, 0x1000, v1
	s_delay_alu instid0(VALU_DEP_2)
	v_cmp_lt_u32_e64 s15, 0x7bff, v3
	s_or_b32 s16, s15, s16
	s_wait_dscnt 0x0
	v_add_nc_u32_e32 v4, v7, v4
	s_and_not1_b32 exec_lo, exec_lo, s16
	s_cbranch_execz .LBB21_67
.LBB21_33:                              ; =>This Inner Loop Header: Depth=1
	ds_load_b32 v7, v1
	s_wait_dscnt 0x0
	s_barrier_signal -1
	s_barrier_wait -1
	v_cmp_gt_i32_e64 s15, s30, v7
	s_bcnt1_i32_b32 s41, s15
	s_delay_alu instid0(SALU_CYCLE_1) | instskip(NEXT) | instid1(VALU_DEP_1)
	v_dual_mov_b32 v9, s41 :: v_dual_bitop2_b32 v8, s15, v2 bitop3:0x40
	v_bcnt_u32_b32 v8, v8, 0
	ds_store_b32 v5, v9
	s_wait_dscnt 0x0
	s_barrier_signal -1
	s_barrier_wait -1
	s_and_saveexec_b32 s41, s0
	s_cbranch_execnz .LBB21_50
; %bb.34:                               ;   in Loop: Header=BB21_33 Depth=1
	s_or_b32 exec_lo, exec_lo, s41
	s_and_saveexec_b32 s41, s1
	s_cbranch_execnz .LBB21_51
.LBB21_35:                              ;   in Loop: Header=BB21_33 Depth=1
	s_or_b32 exec_lo, exec_lo, s41
	s_and_saveexec_b32 s41, s2
	s_cbranch_execnz .LBB21_52
.LBB21_36:                              ;   in Loop: Header=BB21_33 Depth=1
	s_or_b32 exec_lo, exec_lo, s41
	s_and_saveexec_b32 s41, s3
	s_cbranch_execnz .LBB21_53
.LBB21_37:                              ;   in Loop: Header=BB21_33 Depth=1
	s_or_b32 exec_lo, exec_lo, s41
	s_and_saveexec_b32 s41, s4
	s_cbranch_execnz .LBB21_54
.LBB21_38:                              ;   in Loop: Header=BB21_33 Depth=1
	s_or_b32 exec_lo, exec_lo, s41
	s_and_saveexec_b32 s41, s5
	s_cbranch_execnz .LBB21_55
.LBB21_39:                              ;   in Loop: Header=BB21_33 Depth=1
	s_or_b32 exec_lo, exec_lo, s41
	s_and_saveexec_b32 s41, s6
	s_cbranch_execnz .LBB21_56
.LBB21_40:                              ;   in Loop: Header=BB21_33 Depth=1
	s_or_b32 exec_lo, exec_lo, s41
	s_and_saveexec_b32 s41, s7
	s_cbranch_execnz .LBB21_57
.LBB21_41:                              ;   in Loop: Header=BB21_33 Depth=1
	s_or_b32 exec_lo, exec_lo, s41
	s_and_saveexec_b32 s41, s8
	s_cbranch_execnz .LBB21_58
.LBB21_42:                              ;   in Loop: Header=BB21_33 Depth=1
	s_or_b32 exec_lo, exec_lo, s41
	s_and_saveexec_b32 s41, s9
	s_cbranch_execnz .LBB21_59
.LBB21_43:                              ;   in Loop: Header=BB21_33 Depth=1
	s_or_b32 exec_lo, exec_lo, s41
	s_and_saveexec_b32 s41, s10
	s_cbranch_execnz .LBB21_60
.LBB21_44:                              ;   in Loop: Header=BB21_33 Depth=1
	s_or_b32 exec_lo, exec_lo, s41
	s_and_saveexec_b32 s41, s11
	s_cbranch_execnz .LBB21_61
.LBB21_45:                              ;   in Loop: Header=BB21_33 Depth=1
	s_or_b32 exec_lo, exec_lo, s41
	s_and_saveexec_b32 s41, s12
	s_cbranch_execnz .LBB21_62
.LBB21_46:                              ;   in Loop: Header=BB21_33 Depth=1
	s_or_b32 exec_lo, exec_lo, s41
	s_and_saveexec_b32 s41, s13
	s_cbranch_execnz .LBB21_63
.LBB21_47:                              ;   in Loop: Header=BB21_33 Depth=1
	s_or_b32 exec_lo, exec_lo, s41
	s_and_saveexec_b32 s41, s14
	s_cbranch_execnz .LBB21_64
.LBB21_48:                              ;   in Loop: Header=BB21_33 Depth=1
	s_or_b32 exec_lo, exec_lo, s41
	s_and_saveexec_b32 s41, s15
	s_cbranch_execnz .LBB21_65
.LBB21_49:                              ;   in Loop: Header=BB21_33 Depth=1
	s_or_b32 exec_lo, exec_lo, s41
	s_and_saveexec_b32 s15, vcc_lo
	s_cbranch_execz .LBB21_32
	s_branch .LBB21_66
.LBB21_50:                              ;   in Loop: Header=BB21_33 Depth=1
	v_mov_b32_e32 v9, s17
	ds_load_b32 v9, v9
	s_wait_dscnt 0x0
	v_add_nc_u32_e32 v8, v9, v8
	s_or_b32 exec_lo, exec_lo, s41
	s_and_saveexec_b32 s41, s1
	s_cbranch_execz .LBB21_35
.LBB21_51:                              ;   in Loop: Header=BB21_33 Depth=1
	v_mov_b32_e32 v9, s18
	ds_load_b32 v9, v9
	s_wait_dscnt 0x0
	v_add_nc_u32_e32 v8, v9, v8
	s_or_b32 exec_lo, exec_lo, s41
	s_and_saveexec_b32 s41, s2
	s_cbranch_execz .LBB21_36
.LBB21_52:                              ;   in Loop: Header=BB21_33 Depth=1
	v_mov_b32_e32 v9, s19
	ds_load_b32 v9, v9
	s_wait_dscnt 0x0
	v_add_nc_u32_e32 v8, v9, v8
	s_or_b32 exec_lo, exec_lo, s41
	s_and_saveexec_b32 s41, s3
	s_cbranch_execz .LBB21_37
.LBB21_53:                              ;   in Loop: Header=BB21_33 Depth=1
	v_mov_b32_e32 v9, s24
	ds_load_b32 v9, v9
	s_wait_dscnt 0x0
	v_add_nc_u32_e32 v8, v9, v8
	s_or_b32 exec_lo, exec_lo, s41
	s_and_saveexec_b32 s41, s4
	s_cbranch_execz .LBB21_38
.LBB21_54:                              ;   in Loop: Header=BB21_33 Depth=1
	v_mov_b32_e32 v9, s25
	ds_load_b32 v9, v9
	s_wait_dscnt 0x0
	v_add_nc_u32_e32 v8, v9, v8
	s_or_b32 exec_lo, exec_lo, s41
	s_and_saveexec_b32 s41, s5
	s_cbranch_execz .LBB21_39
.LBB21_55:                              ;   in Loop: Header=BB21_33 Depth=1
	v_mov_b32_e32 v9, s27
	ds_load_b32 v9, v9
	s_wait_dscnt 0x0
	v_add_nc_u32_e32 v8, v9, v8
	s_or_b32 exec_lo, exec_lo, s41
	s_and_saveexec_b32 s41, s6
	s_cbranch_execz .LBB21_40
.LBB21_56:                              ;   in Loop: Header=BB21_33 Depth=1
	v_mov_b32_e32 v9, s29
	ds_load_b32 v9, v9
	s_wait_dscnt 0x0
	v_add_nc_u32_e32 v8, v9, v8
	s_or_b32 exec_lo, exec_lo, s41
	s_and_saveexec_b32 s41, s7
	s_cbranch_execz .LBB21_41
.LBB21_57:                              ;   in Loop: Header=BB21_33 Depth=1
	v_mov_b32_e32 v9, s31
	ds_load_b32 v9, v9
	s_wait_dscnt 0x0
	v_add_nc_u32_e32 v8, v9, v8
	s_or_b32 exec_lo, exec_lo, s41
	s_and_saveexec_b32 s41, s8
	s_cbranch_execz .LBB21_42
.LBB21_58:                              ;   in Loop: Header=BB21_33 Depth=1
	v_mov_b32_e32 v9, s33
	ds_load_b32 v9, v9
	s_wait_dscnt 0x0
	v_add_nc_u32_e32 v8, v9, v8
	s_or_b32 exec_lo, exec_lo, s41
	s_and_saveexec_b32 s41, s9
	s_cbranch_execz .LBB21_43
.LBB21_59:                              ;   in Loop: Header=BB21_33 Depth=1
	v_mov_b32_e32 v9, s34
	ds_load_b32 v9, v9
	s_wait_dscnt 0x0
	v_add_nc_u32_e32 v8, v9, v8
	s_or_b32 exec_lo, exec_lo, s41
	s_and_saveexec_b32 s41, s10
	s_cbranch_execz .LBB21_44
.LBB21_60:                              ;   in Loop: Header=BB21_33 Depth=1
	v_mov_b32_e32 v9, s35
	ds_load_b32 v9, v9
	s_wait_dscnt 0x0
	v_add_nc_u32_e32 v8, v9, v8
	s_or_b32 exec_lo, exec_lo, s41
	s_and_saveexec_b32 s41, s11
	s_cbranch_execz .LBB21_45
.LBB21_61:                              ;   in Loop: Header=BB21_33 Depth=1
	v_mov_b32_e32 v9, s37
	ds_load_b32 v9, v9
	s_wait_dscnt 0x0
	v_add_nc_u32_e32 v8, v9, v8
	s_or_b32 exec_lo, exec_lo, s41
	s_and_saveexec_b32 s41, s12
	s_cbranch_execz .LBB21_46
.LBB21_62:                              ;   in Loop: Header=BB21_33 Depth=1
	v_mov_b32_e32 v9, s38
	ds_load_b32 v9, v9
	s_wait_dscnt 0x0
	v_add_nc_u32_e32 v8, v9, v8
	s_or_b32 exec_lo, exec_lo, s41
	s_and_saveexec_b32 s41, s13
	s_cbranch_execz .LBB21_47
.LBB21_63:                              ;   in Loop: Header=BB21_33 Depth=1
	v_mov_b32_e32 v9, s39
	ds_load_b32 v9, v9
	s_wait_dscnt 0x0
	v_add_nc_u32_e32 v8, v9, v8
	s_or_b32 exec_lo, exec_lo, s41
	s_and_saveexec_b32 s41, s14
	s_cbranch_execz .LBB21_48
.LBB21_64:                              ;   in Loop: Header=BB21_33 Depth=1
	v_mov_b32_e32 v9, s40
	ds_load_b32 v9, v9
	s_wait_dscnt 0x0
	v_add_nc_u32_e32 v8, v9, v8
	s_or_b32 exec_lo, exec_lo, s41
	s_and_saveexec_b32 s41, s15
	s_cbranch_execz .LBB21_49
.LBB21_65:                              ;   in Loop: Header=BB21_33 Depth=1
	v_lshlrev_b32_e32 v9, 2, v4
	s_delay_alu instid0(VALU_DEP_1) | instskip(NEXT) | instid1(VALU_DEP_1)
	v_dual_lshlrev_b32 v10, 2, v8 :: v_dual_add_nc_u32 v9, 0, v9
	v_add3_u32 v9, v9, v10, -4
	ds_store_b32 v9, v7
	s_or_b32 exec_lo, exec_lo, s41
	s_and_saveexec_b32 s15, vcc_lo
	s_cbranch_execz .LBB21_32
.LBB21_66:                              ;   in Loop: Header=BB21_33 Depth=1
	v_mov_b32_e32 v7, s36
	ds_store_b32 v7, v8
	s_branch .LBB21_32
.LBB21_67:
	s_or_b32 exec_lo, exec_lo, s16
	s_ashr_i32 s29, s28, 31
	s_delay_alu instid0(SALU_CYCLE_1) | instskip(NEXT) | instid1(SALU_CYCLE_1)
	s_lshl_b64 s[0:1], s[28:29], 2
	s_add_nc_u64 s[2:3], s[20:21], s[0:1]
	s_load_b64 s[0:1], s[2:3], 0x0
	s_wait_kmcnt 0x0
	s_sub_co_i32 s4, s1, s0
	s_mov_b32 s1, exec_lo
	v_cmpx_gt_i32_e64 s4, v0
	s_cbranch_execz .LBB21_81
; %bb.68:
	v_sub_co_u32 v1, s1, s4, 2
	s_sub_co_i32 s2, s0, s26
	s_xor_b32 s6, s1, -1
	s_and_b32 s5, s4, -2
	v_readfirstlane_b32 s3, v1
	s_lshr_b32 s0, s3, 1
	s_mov_b32 s3, 0
	s_add_co_i32 s0, s0, 1
	s_mov_b32 s11, s3
	s_and_b32 s1, s0, 7
	s_and_b32 s7, s0, -8
	s_cmp_lg_u32 s1, 0
	v_cmp_lt_u32_e64 s0, 13, v1
	s_cselect_b32 s8, -1, 0
	s_cmp_lg_u32 s4, s5
	s_cselect_b32 s9, -1, 0
	s_lshl_b32 s10, s1, 3
	s_branch .LBB21_70
.LBB21_69:                              ;   in Loop: Header=BB21_70 Depth=1
	v_add_nc_u32_e32 v0, 0x400, v0
	s_wait_dscnt 0x0
	v_add_nc_u32_e32 v1, s26, v1
	s_delay_alu instid0(VALU_DEP_2)
	v_cmp_le_i32_e32 vcc_lo, s4, v0
	global_store_b32 v2, v1, s[22:23] scale_offset
	s_or_b32 s11, vcc_lo, s11
	s_wait_xcnt 0x0
	s_and_not1_b32 exec_lo, exec_lo, s11
	s_cbranch_execz .LBB21_81
.LBB21_70:                              ; =>This Loop Header: Depth=1
                                        ;     Child Loop BB21_73 Depth 2
                                        ;     Child Loop BB21_76 Depth 2
	;; [unrolled: 1-line block ×3, first 2 shown]
	v_lshl_add_u32 v1, v0, 2, 0
	v_mov_b32_e32 v2, s2
	s_and_not1_b32 vcc_lo, exec_lo, s6
	s_mov_b32 s1, 0
	s_mov_b32 s12, -1
	ds_load_b32 v1, v1
	s_cbranch_vccnz .LBB21_78
; %bb.71:                               ;   in Loop: Header=BB21_70 Depth=1
	v_mov_b64_e32 v[2:3], s[2:3]
	s_and_not1_b32 vcc_lo, exec_lo, s0
	s_mov_b32 s12, 0
	s_cbranch_vccnz .LBB21_74
; %bb.72:                               ;   in Loop: Header=BB21_70 Depth=1
	v_dual_mov_b32 v2, s2 :: v_dual_mov_b32 v3, 0
	s_mov_b32 s13, 0
	s_mov_b32 s14, s7
.LBB21_73:                              ;   Parent Loop BB21_70 Depth=1
                                        ; =>  This Inner Loop Header: Depth=2
	v_mov_b32_e32 v18, s13
	s_add_co_i32 s14, s14, -8
	s_add_co_i32 s12, s12, 16
	s_add_co_i32 s13, s13, 64
	s_cmp_lg_u32 s14, 0
	ds_load_2addr_b32 v[4:5], v18 offset1:1
	ds_load_2addr_b32 v[6:7], v18 offset0:2 offset1:3
	ds_load_2addr_b32 v[8:9], v18 offset0:4 offset1:5
	;; [unrolled: 1-line block ×7, first 2 shown]
	s_wait_dscnt 0x7
	v_cmp_gt_i32_e32 vcc_lo, v1, v5
	s_wait_dscnt 0x5
	v_cmp_gt_i32_e64 s1, v1, v8
	v_cndmask_b32_e64 v5, 0, 1, vcc_lo
	v_cmp_gt_i32_e32 vcc_lo, v1, v4
	v_cndmask_b32_e64 v4, 0, 1, vcc_lo
	v_cmp_gt_i32_e32 vcc_lo, v1, v6
	v_cndmask_b32_e64 v6, 0, 1, s1
	v_cmp_gt_i32_e64 s1, v1, v9
	s_delay_alu instid0(VALU_DEP_4) | instskip(NEXT) | instid1(VALU_DEP_2)
	v_add_co_ci_u32_e64 v2, null, v2, v4, vcc_lo
	v_cndmask_b32_e64 v8, 0, 1, s1
	s_wait_dscnt 0x4
	v_cmp_gt_i32_e64 s1, v1, v11
	s_wait_dscnt 0x2
	v_cmp_gt_i32_e32 vcc_lo, v1, v14
	s_delay_alu instid0(VALU_DEP_2) | instskip(SKIP_4) | instid1(VALU_DEP_3)
	v_cndmask_b32_e64 v9, 0, 1, s1
	v_cmp_gt_i32_e64 s1, v1, v10
	v_add_co_ci_u32_e64 v2, null, v2, v6, vcc_lo
	s_wait_dscnt 0x1
	v_cmp_gt_i32_e32 vcc_lo, v1, v16
	v_cndmask_b32_e64 v10, 0, 1, s1
	v_cmp_gt_i32_e64 s1, v1, v12
	s_delay_alu instid0(VALU_DEP_2) | instskip(NEXT) | instid1(VALU_DEP_2)
	v_add_co_ci_u32_e64 v2, null, v2, v10, vcc_lo
	v_cndmask_b32_e64 v11, 0, 1, s1
	v_cmp_gt_i32_e64 s1, v1, v13
	s_wait_dscnt 0x0
	v_cmp_gt_i32_e32 vcc_lo, v1, v18
	s_delay_alu instid0(VALU_DEP_2) | instskip(SKIP_2) | instid1(VALU_DEP_2)
	v_cndmask_b32_e64 v12, 0, 1, s1
	v_cmp_gt_i32_e64 s1, v1, v7
	v_add_co_ci_u32_e64 v2, null, v2, v11, vcc_lo
	v_add_co_ci_u32_e64 v3, null, v3, v5, s1
	v_cmp_gt_i32_e64 s1, v1, v15
	s_delay_alu instid0(VALU_DEP_1) | instskip(SKIP_1) | instid1(VALU_DEP_1)
	v_add_co_ci_u32_e64 v3, null, v3, v8, s1
	v_cmp_gt_i32_e64 s1, v1, v17
	v_add_co_ci_u32_e64 v3, null, v3, v9, s1
	v_cmp_gt_i32_e64 s1, v1, v19
	s_delay_alu instid0(VALU_DEP_1)
	v_add_co_ci_u32_e64 v3, null, v3, v12, s1
	s_cbranch_scc1 .LBB21_73
.LBB21_74:                              ;   in Loop: Header=BB21_70 Depth=1
	s_and_not1_b32 vcc_lo, exec_lo, s8
	s_cbranch_vccnz .LBB21_77
; %bb.75:                               ;   in Loop: Header=BB21_70 Depth=1
	s_lshl_b32 s1, s12, 2
	s_mov_b32 s12, s10
	s_add_co_i32 s1, s1, 0
.LBB21_76:                              ;   Parent Loop BB21_70 Depth=1
                                        ; =>  This Inner Loop Header: Depth=2
	s_delay_alu instid0(SALU_CYCLE_1)
	v_mov_b32_e32 v4, s1
	s_add_co_i32 s12, s12, -8
	s_add_co_i32 s1, s1, 8
	s_cmp_lg_u32 s12, 0
	ds_load_2addr_b32 v[4:5], v4 offset1:1
	s_wait_dscnt 0x0
	v_cmp_gt_i32_e32 vcc_lo, v1, v5
	v_add_co_ci_u32_e64 v3, null, 0, v3, vcc_lo
	v_cmp_gt_i32_e32 vcc_lo, v1, v4
	v_add_co_ci_u32_e64 v2, null, 0, v2, vcc_lo
	s_cbranch_scc1 .LBB21_76
.LBB21_77:                              ;   in Loop: Header=BB21_70 Depth=1
	s_delay_alu instid0(VALU_DEP_1)
	v_add_nc_u32_e32 v2, v2, v3
	s_mov_b32 s1, s5
	s_mov_b32 s12, s9
.LBB21_78:                              ;   in Loop: Header=BB21_70 Depth=1
	s_delay_alu instid0(SALU_CYCLE_1)
	s_and_b32 vcc_lo, exec_lo, s12
	s_cbranch_vccz .LBB21_69
; %bb.79:                               ;   in Loop: Header=BB21_70 Depth=1
	s_lshl_b32 s12, s1, 2
	s_delay_alu instid0(SALU_CYCLE_1)
	s_add_co_i32 s12, s12, 0
.LBB21_80:                              ;   Parent Loop BB21_70 Depth=1
                                        ; =>  This Inner Loop Header: Depth=2
	s_delay_alu instid0(SALU_CYCLE_1)
	v_mov_b32_e32 v3, s12
	s_add_co_i32 s1, s1, 1
	s_add_co_i32 s12, s12, 4
	s_cmp_ge_i32 s1, s4
	ds_load_b32 v3, v3
	s_wait_dscnt 0x0
	v_cmp_gt_i32_e32 vcc_lo, v1, v3
	v_add_co_ci_u32_e64 v2, null, 0, v2, vcc_lo
	s_cbranch_scc0 .LBB21_80
	s_branch .LBB21_69
.LBB21_81:
	s_endpgm
	.section	.rodata,"a",@progbits
	.p2align	6, 0x0
	.amdhsa_kernel _ZN9rocsparseL35csrgemm_symbolic_fill_block_per_rowILj1024ELj64ELj32768ELj137ELj64EiiEEvT5_PKS1_S3_PKT4_S3_S6_S3_S6_S3_S6_PS1_21rocsparse_index_base_S8_S8_S8_bb
		.amdhsa_group_segment_fixed_size 0
		.amdhsa_private_segment_fixed_size 0
		.amdhsa_kernarg_size 108
		.amdhsa_user_sgpr_count 2
		.amdhsa_user_sgpr_dispatch_ptr 0
		.amdhsa_user_sgpr_queue_ptr 0
		.amdhsa_user_sgpr_kernarg_segment_ptr 1
		.amdhsa_user_sgpr_dispatch_id 0
		.amdhsa_user_sgpr_kernarg_preload_length 0
		.amdhsa_user_sgpr_kernarg_preload_offset 0
		.amdhsa_user_sgpr_private_segment_size 0
		.amdhsa_wavefront_size32 1
		.amdhsa_uses_dynamic_stack 0
		.amdhsa_enable_private_segment 0
		.amdhsa_system_sgpr_workgroup_id_x 1
		.amdhsa_system_sgpr_workgroup_id_y 0
		.amdhsa_system_sgpr_workgroup_id_z 0
		.amdhsa_system_sgpr_workgroup_info 0
		.amdhsa_system_vgpr_workitem_id 0
		.amdhsa_next_free_vgpr 20
		.amdhsa_next_free_sgpr 42
		.amdhsa_named_barrier_count 0
		.amdhsa_reserve_vcc 1
		.amdhsa_float_round_mode_32 0
		.amdhsa_float_round_mode_16_64 0
		.amdhsa_float_denorm_mode_32 3
		.amdhsa_float_denorm_mode_16_64 3
		.amdhsa_fp16_overflow 0
		.amdhsa_memory_ordered 1
		.amdhsa_forward_progress 1
		.amdhsa_inst_pref_size 25
		.amdhsa_round_robin_scheduling 0
		.amdhsa_exception_fp_ieee_invalid_op 0
		.amdhsa_exception_fp_denorm_src 0
		.amdhsa_exception_fp_ieee_div_zero 0
		.amdhsa_exception_fp_ieee_overflow 0
		.amdhsa_exception_fp_ieee_underflow 0
		.amdhsa_exception_fp_ieee_inexact 0
		.amdhsa_exception_int_div_zero 0
	.end_amdhsa_kernel
	.section	.text._ZN9rocsparseL35csrgemm_symbolic_fill_block_per_rowILj1024ELj64ELj32768ELj137ELj64EiiEEvT5_PKS1_S3_PKT4_S3_S6_S3_S6_S3_S6_PS1_21rocsparse_index_base_S8_S8_S8_bb,"axG",@progbits,_ZN9rocsparseL35csrgemm_symbolic_fill_block_per_rowILj1024ELj64ELj32768ELj137ELj64EiiEEvT5_PKS1_S3_PKT4_S3_S6_S3_S6_S3_S6_PS1_21rocsparse_index_base_S8_S8_S8_bb,comdat
.Lfunc_end21:
	.size	_ZN9rocsparseL35csrgemm_symbolic_fill_block_per_rowILj1024ELj64ELj32768ELj137ELj64EiiEEvT5_PKS1_S3_PKT4_S3_S6_S3_S6_S3_S6_PS1_21rocsparse_index_base_S8_S8_S8_bb, .Lfunc_end21-_ZN9rocsparseL35csrgemm_symbolic_fill_block_per_rowILj1024ELj64ELj32768ELj137ELj64EiiEEvT5_PKS1_S3_PKT4_S3_S6_S3_S6_S3_S6_PS1_21rocsparse_index_base_S8_S8_S8_bb
                                        ; -- End function
	.set _ZN9rocsparseL35csrgemm_symbolic_fill_block_per_rowILj1024ELj64ELj32768ELj137ELj64EiiEEvT5_PKS1_S3_PKT4_S3_S6_S3_S6_S3_S6_PS1_21rocsparse_index_base_S8_S8_S8_bb.num_vgpr, 20
	.set _ZN9rocsparseL35csrgemm_symbolic_fill_block_per_rowILj1024ELj64ELj32768ELj137ELj64EiiEEvT5_PKS1_S3_PKT4_S3_S6_S3_S6_S3_S6_PS1_21rocsparse_index_base_S8_S8_S8_bb.num_agpr, 0
	.set _ZN9rocsparseL35csrgemm_symbolic_fill_block_per_rowILj1024ELj64ELj32768ELj137ELj64EiiEEvT5_PKS1_S3_PKT4_S3_S6_S3_S6_S3_S6_PS1_21rocsparse_index_base_S8_S8_S8_bb.numbered_sgpr, 42
	.set _ZN9rocsparseL35csrgemm_symbolic_fill_block_per_rowILj1024ELj64ELj32768ELj137ELj64EiiEEvT5_PKS1_S3_PKT4_S3_S6_S3_S6_S3_S6_PS1_21rocsparse_index_base_S8_S8_S8_bb.num_named_barrier, 0
	.set _ZN9rocsparseL35csrgemm_symbolic_fill_block_per_rowILj1024ELj64ELj32768ELj137ELj64EiiEEvT5_PKS1_S3_PKT4_S3_S6_S3_S6_S3_S6_PS1_21rocsparse_index_base_S8_S8_S8_bb.private_seg_size, 0
	.set _ZN9rocsparseL35csrgemm_symbolic_fill_block_per_rowILj1024ELj64ELj32768ELj137ELj64EiiEEvT5_PKS1_S3_PKT4_S3_S6_S3_S6_S3_S6_PS1_21rocsparse_index_base_S8_S8_S8_bb.uses_vcc, 1
	.set _ZN9rocsparseL35csrgemm_symbolic_fill_block_per_rowILj1024ELj64ELj32768ELj137ELj64EiiEEvT5_PKS1_S3_PKT4_S3_S6_S3_S6_S3_S6_PS1_21rocsparse_index_base_S8_S8_S8_bb.uses_flat_scratch, 0
	.set _ZN9rocsparseL35csrgemm_symbolic_fill_block_per_rowILj1024ELj64ELj32768ELj137ELj64EiiEEvT5_PKS1_S3_PKT4_S3_S6_S3_S6_S3_S6_PS1_21rocsparse_index_base_S8_S8_S8_bb.has_dyn_sized_stack, 0
	.set _ZN9rocsparseL35csrgemm_symbolic_fill_block_per_rowILj1024ELj64ELj32768ELj137ELj64EiiEEvT5_PKS1_S3_PKT4_S3_S6_S3_S6_S3_S6_PS1_21rocsparse_index_base_S8_S8_S8_bb.has_recursion, 0
	.set _ZN9rocsparseL35csrgemm_symbolic_fill_block_per_rowILj1024ELj64ELj32768ELj137ELj64EiiEEvT5_PKS1_S3_PKT4_S3_S6_S3_S6_S3_S6_PS1_21rocsparse_index_base_S8_S8_S8_bb.has_indirect_call, 0
	.section	.AMDGPU.csdata,"",@progbits
; Kernel info:
; codeLenInByte = 3140
; TotalNumSgprs: 44
; NumVgprs: 20
; ScratchSize: 0
; MemoryBound: 0
; FloatMode: 240
; IeeeMode: 1
; LDSByteSize: 0 bytes/workgroup (compile time only)
; SGPRBlocks: 0
; VGPRBlocks: 1
; NumSGPRsForWavesPerEU: 44
; NumVGPRsForWavesPerEU: 20
; NamedBarCnt: 0
; Occupancy: 16
; WaveLimiterHint : 1
; COMPUTE_PGM_RSRC2:SCRATCH_EN: 0
; COMPUTE_PGM_RSRC2:USER_SGPR: 2
; COMPUTE_PGM_RSRC2:TRAP_HANDLER: 0
; COMPUTE_PGM_RSRC2:TGID_X_EN: 1
; COMPUTE_PGM_RSRC2:TGID_Y_EN: 0
; COMPUTE_PGM_RSRC2:TGID_Z_EN: 0
; COMPUTE_PGM_RSRC2:TIDIG_COMP_CNT: 0
	.section	.text._ZN9rocsparseL45csrgemm_symbolic_fill_block_per_row_multipassILj512ELj16ELj2048ELj32EiiEEvT4_PKS1_S3_PKT3_S3_S6_S3_S6_S3_S6_PS1_PS4_21rocsparse_index_base_S9_S9_S9_bb,"axG",@progbits,_ZN9rocsparseL45csrgemm_symbolic_fill_block_per_row_multipassILj512ELj16ELj2048ELj32EiiEEvT4_PKS1_S3_PKT3_S3_S6_S3_S6_S3_S6_PS1_PS4_21rocsparse_index_base_S9_S9_S9_bb,comdat
	.globl	_ZN9rocsparseL45csrgemm_symbolic_fill_block_per_row_multipassILj512ELj16ELj2048ELj32EiiEEvT4_PKS1_S3_PKT3_S3_S6_S3_S6_S3_S6_PS1_PS4_21rocsparse_index_base_S9_S9_S9_bb ; -- Begin function _ZN9rocsparseL45csrgemm_symbolic_fill_block_per_row_multipassILj512ELj16ELj2048ELj32EiiEEvT4_PKS1_S3_PKT3_S3_S6_S3_S6_S3_S6_PS1_PS4_21rocsparse_index_base_S9_S9_S9_bb
	.p2align	8
	.type	_ZN9rocsparseL45csrgemm_symbolic_fill_block_per_row_multipassILj512ELj16ELj2048ELj32EiiEEvT4_PKS1_S3_PKT3_S3_S6_S3_S6_S3_S6_PS1_PS4_21rocsparse_index_base_S9_S9_S9_bb,@function
_ZN9rocsparseL45csrgemm_symbolic_fill_block_per_row_multipassILj512ELj16ELj2048ELj32EiiEEvT4_PKS1_S3_PKT3_S3_S6_S3_S6_S3_S6_PS1_PS4_21rocsparse_index_base_S9_S9_S9_bb: ; @_ZN9rocsparseL45csrgemm_symbolic_fill_block_per_row_multipassILj512ELj16ELj2048ELj32EiiEEvT4_PKS1_S3_PKT3_S3_S6_S3_S6_S3_S6_PS1_PS4_21rocsparse_index_base_S9_S9_S9_bb
; %bb.0:
	s_clause 0x2
	s_load_b128 s[8:11], s[0:1], 0x8
	s_load_b32 s4, s[0:1], 0x70
	s_load_b64 s[2:3], s[0:1], 0x18
	s_mov_b32 s21, 0
	s_wait_kmcnt 0x0
	s_load_b32 s5, s[8:9], 0x0
	s_load_b128 s[44:47], s[0:1], 0x60
	s_bitcmp1_b32 s4, 0
	s_wait_xcnt 0x0
	s_getreg_b32 s8, hwreg(HW_REG_IB_STS2, 6, 4)
	s_cselect_b32 s18, -1, 0
	s_bfe_u32 s6, ttmp6, 0x4000c
	s_and_b32 s7, ttmp6, 15
	s_add_co_i32 s6, s6, 1
	s_delay_alu instid0(SALU_CYCLE_1) | instskip(NEXT) | instid1(SALU_CYCLE_1)
	s_mul_i32 s6, ttmp9, s6
	s_add_co_i32 s7, s7, s6
	s_cmp_eq_u32 s8, 0
	s_mov_b32 s8, 0
	s_cselect_b32 s6, ttmp9, s7
	s_wait_kmcnt 0x0
	s_add_co_i32 s5, s5, s6
	s_bitcmp0_b32 s4, 0
	s_load_b32 s6, s[10:11], s5 offset:0x0 scale_offset
	s_cbranch_scc0 .LBB22_3
; %bb.1:
	s_and_not1_b32 vcc_lo, exec_lo, s18
	s_cbranch_vccz .LBB22_4
.LBB22_2:
	s_load_b32 s33, s[0:1], 0x0
	s_wait_kmcnt 0x0
	s_cmp_lt_i32 s33, 1
	s_cbranch_scc0 .LBB22_5
	s_branch .LBB22_64
.LBB22_3:
	s_wait_kmcnt 0x0
	s_ashr_i32 s7, s6, 31
	s_delay_alu instid0(SALU_CYCLE_1) | instskip(NEXT) | instid1(SALU_CYCLE_1)
	s_lshl_b64 s[8:9], s[6:7], 2
	s_add_nc_u64 s[8:9], s[2:3], s[8:9]
	s_load_b32 s5, s[8:9], 0x0
	s_wait_kmcnt 0x0
	s_sub_co_i32 s8, s5, s44
	s_and_not1_b32 vcc_lo, exec_lo, s18
	s_cbranch_vccnz .LBB22_2
.LBB22_4:
	s_wait_kmcnt 0x0
	s_ashr_i32 s7, s6, 31
	s_delay_alu instid0(SALU_CYCLE_1) | instskip(NEXT) | instid1(SALU_CYCLE_1)
	s_lshl_b64 s[10:11], s[6:7], 2
	s_add_nc_u64 s[2:3], s[2:3], s[10:11]
	s_load_b32 s2, s[2:3], 0x4
	s_wait_kmcnt 0x0
	s_sub_co_i32 s21, s2, s44
	s_load_b32 s33, s[0:1], 0x0
	s_wait_kmcnt 0x0
	s_cmp_lt_i32 s33, 1
	s_cbranch_scc1 .LBB22_64
.LBB22_5:
	s_clause 0x1
	s_load_b256 s[24:31], s[0:1], 0x40
	s_load_b256 s[36:43], s[0:1], 0x20
	v_dual_lshrrev_b32 v2, 4, v0 :: v_dual_bitop2_b32 v1, 15, v0 bitop3:0x40
	v_mbcnt_lo_u32_b32 v4, -1, 0
	s_bitcmp1_b32 s4, 8
	v_dual_mov_b32 v10, 0 :: v_dual_lshrrev_b32 v5, 3, v0
	s_delay_alu instid0(VALU_DEP_2) | instskip(SKIP_2) | instid1(VALU_DEP_2)
	v_dual_add_nc_u32 v11, s8, v2 :: v_dual_bitop2_b32 v2, 8, v4 bitop3:0x14
	s_cselect_b32 s34, -1, 0
	s_ashr_i32 s7, s6, 31
	v_and_b32_e32 v12, 60, v5
	s_lshl_b64 s[22:23], s[6:7], 2
	v_cmp_gt_i32_e64 s7, 32, v2
	v_xor_b32_e32 v6, 4, v4
	v_cmp_gt_i32_e32 vcc_lo, s21, v11
	s_wait_xcnt 0x0
	v_cmp_eq_u32_e64 s0, 0, v0
	v_subrev_nc_u32_e32 v3, s47, v0
	v_cndmask_b32_e64 v5, v4, v2, s7
	s_wait_kmcnt 0x0
	s_add_nc_u64 s[8:9], s[26:27], s[22:23]
	v_cmp_gt_i32_e64 s7, 32, v6
	s_load_b32 s8, s[8:9], 0x0
	v_xor_b32_e32 v7, 2, v4
	v_dual_lshlrev_b32 v13, 2, v5 :: v_dual_bitop2_b32 v9, 31, v4 bitop3:0x14
	v_cndmask_b32_e64 v6, v4, v6, s7
	v_cmp_eq_u32_e64 s1, 0x1ff, v0
	s_delay_alu instid0(VALU_DEP_4)
	v_cmp_gt_i32_e64 s7, 32, v7
	v_xor_b32_e32 v8, 1, v4
	v_cmp_gt_u32_e64 s2, 32, v0
	v_cmp_gt_u32_e64 s3, 64, v0
	;; [unrolled: 1-line block ×3, first 2 shown]
	v_cndmask_b32_e64 v7, v4, v7, s7
	v_cmp_gt_i32_e64 s7, 32, v8
	v_cmp_gt_u32_e64 s5, 0x80, v0
	v_cmp_eq_u32_e64 s6, 15, v1
	v_lshrrev_b32_e64 v2, v9, -1
	v_dual_lshlrev_b32 v14, 2, v6 :: v_dual_lshlrev_b32 v15, 2, v7
	v_cndmask_b32_e64 v4, v4, v8, s7
	v_cmp_gt_u32_e64 s7, 0xa0, v0
	s_wait_kmcnt 0x0
	s_sub_co_i32 s19, s8, s46
	v_cmp_gt_u32_e64 s8, 0xc0, v0
	v_cmp_gt_u32_e64 s9, 0xe0, v0
	v_dual_mov_b32 v17, s19 :: v_dual_lshlrev_b32 v16, 2, v4
	v_cmp_gt_u32_e64 s10, 0x100, v0
	v_cmp_gt_u32_e64 s11, 0x120, v0
	;; [unrolled: 1-line block ×8, first 2 shown]
	v_dual_mov_b32 v20, 0x800 :: v_dual_mov_b32 v19, 0
	v_mov_b32_e32 v18, 1
	s_add_nc_u64 s[22:23], s[42:43], s[22:23]
	s_and_b32 s26, s18, vcc_lo
	s_mov_b32 s27, -1
	s_branch .LBB22_7
.LBB22_6:                               ;   in Loop: Header=BB22_7 Depth=1
	s_or_b32 exec_lo, exec_lo, s18
	ds_load_b32 v19, v10 offset:10240
	s_wait_dscnt 0x0
	s_barrier_signal -1
	s_barrier_wait -1
	v_cmp_le_i32_e32 vcc_lo, s33, v19
	v_add_nc_u32_e32 v20, 0x800, v19
	s_cbranch_vccnz .LBB22_64
.LBB22_7:                               ; =>This Loop Header: Depth=1
                                        ;     Child Loop BB22_16 Depth 2
                                        ;       Child Loop BB22_22 Depth 3
                                        ;     Child Loop BB22_43 Depth 2
                                        ;     Child Loop BB22_55 Depth 2
	;; [unrolled: 1-line block ×3, first 2 shown]
	s_and_saveexec_b32 s18, s27
	s_cbranch_execnz .LBB22_34
; %bb.8:                                ;   in Loop: Header=BB22_7 Depth=1
	s_or_b32 exec_lo, exec_lo, s18
	s_and_saveexec_b32 s18, s27
	s_cbranch_execnz .LBB22_35
.LBB22_9:                               ;   in Loop: Header=BB22_7 Depth=1
	s_or_b32 exec_lo, exec_lo, s18
	s_and_saveexec_b32 s18, s27
	s_cbranch_execnz .LBB22_36
.LBB22_10:                              ;   in Loop: Header=BB22_7 Depth=1
	s_or_b32 exec_lo, exec_lo, s18
	s_and_saveexec_b32 s18, s27
	s_cbranch_execnz .LBB22_37
.LBB22_11:                              ;   in Loop: Header=BB22_7 Depth=1
	s_or_b32 exec_lo, exec_lo, s18
	s_and_saveexec_b32 s18, s0
.LBB22_12:                              ;   in Loop: Header=BB22_7 Depth=1
	v_mov_b32_e32 v4, s33
	ds_store_b32 v10, v4 offset:10240
.LBB22_13:                              ;   in Loop: Header=BB22_7 Depth=1
	s_or_b32 exec_lo, exec_lo, s18
	v_mov_b32_e32 v21, s33
	s_wait_dscnt 0x0
	s_barrier_signal -1
	s_barrier_wait -1
	s_and_saveexec_b32 s35, s26
	s_cbranch_execz .LBB22_39
; %bb.14:                               ;   in Loop: Header=BB22_7 Depth=1
	v_cmp_ne_u32_e64 s18, 0, v19
	v_dual_mov_b32 v21, s33 :: v_dual_mov_b32 v4, v11
	s_mov_b32 s42, 0
	s_branch .LBB22_16
.LBB22_15:                              ;   in Loop: Header=BB22_16 Depth=2
	s_wait_xcnt 0x0
	s_or_b32 exec_lo, exec_lo, s19
	v_add_nc_u32_e32 v4, 32, v4
	s_delay_alu instid0(VALU_DEP_1) | instskip(SKIP_1) | instid1(SALU_CYCLE_1)
	v_cmp_le_i32_e32 vcc_lo, s21, v4
	s_or_b32 s42, vcc_lo, s42
	s_and_not1_b32 exec_lo, exec_lo, s42
	s_cbranch_execz .LBB22_38
.LBB22_16:                              ;   Parent Loop BB22_7 Depth=1
                                        ; =>  This Loop Header: Depth=2
                                        ;       Child Loop BB22_22 Depth 3
	global_load_b32 v6, v4, s[36:37] scale_offset
	v_ashrrev_i32_e32 v5, 31, v4
	s_and_b32 vcc_lo, exec_lo, s18
	s_wait_loadcnt_dscnt 0x0
	v_subrev_nc_u32_e32 v8, s44, v6
	s_delay_alu instid0(VALU_DEP_2) | instskip(NEXT) | instid1(VALU_DEP_2)
	v_lshl_add_u64 v[6:7], v[4:5], 2, s[30:31]
	v_ashrrev_i32_e32 v9, 31, v8
	s_cbranch_vccz .LBB22_33
; %bb.17:                               ;   in Loop: Header=BB22_16 Depth=2
	global_load_b32 v5, v[6:7], off
	s_cbranch_execnz .LBB22_19
.LBB22_18:                              ;   in Loop: Header=BB22_16 Depth=2
	s_wait_loadcnt 0x0
	global_load_b32 v5, v8, s[38:39] scale_offset
	s_wait_loadcnt 0x0
	v_subrev_nc_u32_e32 v5, s45, v5
.LBB22_19:                              ;   in Loop: Header=BB22_16 Depth=2
	s_wait_xcnt 0x0
	v_lshl_add_u64 v[8:9], v[8:9], 2, s[38:39]
	s_wait_loadcnt 0x0
	s_delay_alu instid0(VALU_DEP_2)
	v_add_nc_u32_e32 v5, v5, v1
	s_mov_b32 s43, exec_lo
	global_load_b32 v8, v[8:9], off offset:4
	s_wait_loadcnt 0x0
	s_wait_xcnt 0x0
	v_subrev_nc_u32_e32 v8, s45, v8
	s_delay_alu instid0(VALU_DEP_1)
	v_cmpx_lt_i32_e64 v5, v8
	s_cbranch_execz .LBB22_31
; %bb.20:                               ;   in Loop: Header=BB22_16 Depth=2
	v_mov_b32_e32 v23, v5
	s_mov_b32 s49, 0
                                        ; implicit-def: $sgpr48
                                        ; implicit-def: $sgpr50
	s_branch .LBB22_22
.LBB22_21:                              ;   in Loop: Header=BB22_22 Depth=3
	s_or_b32 exec_lo, exec_lo, s51
	s_delay_alu instid0(SALU_CYCLE_1) | instskip(NEXT) | instid1(SALU_CYCLE_1)
	s_and_b32 s19, exec_lo, s20
	s_or_b32 s49, s19, s49
	s_and_not1_b32 s19, s48, exec_lo
	s_and_b32 s20, s50, exec_lo
	s_delay_alu instid0(SALU_CYCLE_1)
	s_or_b32 s48, s19, s20
	s_and_not1_b32 exec_lo, exec_lo, s49
	s_cbranch_execz .LBB22_28
.LBB22_22:                              ;   Parent Loop BB22_7 Depth=1
                                        ;     Parent Loop BB22_16 Depth=2
                                        ; =>    This Inner Loop Header: Depth=3
	global_load_b32 v22, v23, s[40:41] scale_offset
	v_mov_b32_e32 v9, v23
	s_wait_loadcnt 0x0
	v_subrev_nc_u32_e32 v22, s45, v22
	s_delay_alu instid0(VALU_DEP_1)
	v_cmp_lt_i32_e64 s19, v22, v19
	v_cmp_ge_i32_e64 s20, v22, v20
	v_cmp_lt_i32_e32 vcc_lo, v22, v20
	s_or_b32 s20, s19, s20
	s_mov_b32 s19, 0
	s_wait_xcnt 0x0
	s_and_saveexec_b32 s51, s20
	s_delay_alu instid0(SALU_CYCLE_1)
	s_xor_b32 s20, exec_lo, s51
; %bb.23:                               ;   in Loop: Header=BB22_22 Depth=3
	s_and_b32 s19, vcc_lo, exec_lo
; %bb.24:                               ;   in Loop: Header=BB22_22 Depth=3
	s_and_not1_saveexec_b32 s20, s20
; %bb.25:                               ;   in Loop: Header=BB22_22 Depth=3
	v_sub_nc_u32_e32 v23, v22, v19
	s_or_b32 s19, s19, exec_lo
	ds_store_b8 v23, v18 offset:8192
; %bb.26:                               ;   in Loop: Header=BB22_22 Depth=3
	s_or_b32 exec_lo, exec_lo, s20
	s_mov_b32 s20, -1
	s_or_b32 s50, s50, exec_lo
                                        ; implicit-def: $vgpr23
	s_and_saveexec_b32 s51, s19
	s_cbranch_execz .LBB22_21
; %bb.27:                               ;   in Loop: Header=BB22_22 Depth=3
	v_add_nc_u32_e32 v23, 16, v9
	s_and_not1_b32 s50, s50, exec_lo
	s_delay_alu instid0(VALU_DEP_1)
	v_cmp_ge_i32_e32 vcc_lo, v23, v8
	s_or_not1_b32 s20, vcc_lo, exec_lo
	s_branch .LBB22_21
.LBB22_28:                              ;   in Loop: Header=BB22_16 Depth=2
	s_or_b32 exec_lo, exec_lo, s49
	s_and_saveexec_b32 s19, s48
	s_delay_alu instid0(SALU_CYCLE_1)
	s_xor_b32 s19, exec_lo, s19
; %bb.29:                               ;   in Loop: Header=BB22_16 Depth=2
	v_dual_mov_b32 v5, v9 :: v_dual_min_i32 v21, v22, v21
; %bb.30:                               ;   in Loop: Header=BB22_16 Depth=2
	s_or_b32 exec_lo, exec_lo, s19
.LBB22_31:                              ;   in Loop: Header=BB22_16 Depth=2
	s_delay_alu instid0(SALU_CYCLE_1)
	s_or_b32 exec_lo, exec_lo, s43
	ds_bpermute_b32 v8, v13, v5
	s_wait_dscnt 0x0
	v_min_i32_e32 v5, v8, v5
	ds_bpermute_b32 v8, v14, v5
	s_wait_dscnt 0x0
	v_min_i32_e32 v5, v8, v5
	;; [unrolled: 3-line block ×3, first 2 shown]
	ds_bpermute_b32 v8, v16, v5
	s_and_saveexec_b32 s19, s6
	s_cbranch_execz .LBB22_15
; %bb.32:                               ;   in Loop: Header=BB22_16 Depth=2
	s_wait_dscnt 0x0
	v_min_i32_e32 v5, v8, v5
	global_store_b32 v[6:7], v5, off
	s_branch .LBB22_15
.LBB22_33:                              ;   in Loop: Header=BB22_16 Depth=2
                                        ; implicit-def: $vgpr5
	s_branch .LBB22_18
.LBB22_34:                              ;   in Loop: Header=BB22_7 Depth=1
	ds_store_b8 v0, v10 offset:8192
	s_or_b32 exec_lo, exec_lo, s18
	s_and_saveexec_b32 s18, s27
	s_cbranch_execz .LBB22_9
.LBB22_35:                              ;   in Loop: Header=BB22_7 Depth=1
	ds_store_b8 v0, v10 offset:8704
	s_or_b32 exec_lo, exec_lo, s18
	s_and_saveexec_b32 s18, s27
	s_cbranch_execz .LBB22_10
.LBB22_36:                              ;   in Loop: Header=BB22_7 Depth=1
	ds_store_b8 v0, v10 offset:9216
	s_or_b32 exec_lo, exec_lo, s18
	s_and_saveexec_b32 s18, s27
	s_cbranch_execz .LBB22_11
.LBB22_37:                              ;   in Loop: Header=BB22_7 Depth=1
	ds_store_b8 v0, v10 offset:9728
	s_or_b32 exec_lo, exec_lo, s18
	s_and_saveexec_b32 s18, s0
	s_cbranch_execnz .LBB22_12
	s_branch .LBB22_13
.LBB22_38:                              ;   in Loop: Header=BB22_7 Depth=1
	s_or_b32 exec_lo, exec_lo, s42
.LBB22_39:                              ;   in Loop: Header=BB22_7 Depth=1
	s_delay_alu instid0(SALU_CYCLE_1) | instskip(NEXT) | instid1(SALU_CYCLE_1)
	s_or_b32 exec_lo, exec_lo, s35
	s_and_not1_b32 vcc_lo, exec_lo, s34
	s_cbranch_vccnz .LBB22_53
; %bb.40:                               ;   in Loop: Header=BB22_7 Depth=1
	s_load_b64 s[18:19], s[22:23], 0x0
	s_mov_b32 s20, exec_lo
	s_wait_kmcnt 0x0
	v_add_nc_u32_e32 v4, s18, v3
	s_sub_co_i32 s35, s19, s47
	s_delay_alu instid0(VALU_DEP_1) | instid1(SALU_CYCLE_1)
	v_cmpx_gt_i32_e64 s35, v4
	s_cbranch_execz .LBB22_52
; %bb.41:                               ;   in Loop: Header=BB22_7 Depth=1
	s_mov_b32 s42, 0
                                        ; implicit-def: $sgpr43
                                        ; implicit-def: $sgpr48
	s_branch .LBB22_43
.LBB22_42:                              ;   in Loop: Header=BB22_43 Depth=2
	s_or_b32 exec_lo, exec_lo, s49
	s_delay_alu instid0(SALU_CYCLE_1) | instskip(NEXT) | instid1(SALU_CYCLE_1)
	s_and_b32 s18, exec_lo, s19
	s_or_b32 s42, s18, s42
	s_and_not1_b32 s18, s43, exec_lo
	s_and_b32 s19, s48, exec_lo
	s_delay_alu instid0(SALU_CYCLE_1)
	s_or_b32 s43, s18, s19
	s_and_not1_b32 exec_lo, exec_lo, s42
	s_cbranch_execz .LBB22_49
.LBB22_43:                              ;   Parent Loop BB22_7 Depth=1
                                        ; =>  This Inner Loop Header: Depth=2
	global_load_b32 v5, v4, s[24:25] scale_offset
	s_wait_loadcnt 0x0
	v_subrev_nc_u32_e32 v5, s47, v5
	s_delay_alu instid0(VALU_DEP_1)
	v_cmp_lt_i32_e64 s18, v5, v19
	v_cmp_ge_i32_e64 s19, v5, v20
	v_cmp_lt_i32_e32 vcc_lo, v5, v20
	s_or_b32 s19, s18, s19
	s_mov_b32 s18, 0
	s_wait_xcnt 0x0
	s_and_saveexec_b32 s49, s19
	s_delay_alu instid0(SALU_CYCLE_1)
	s_xor_b32 s19, exec_lo, s49
; %bb.44:                               ;   in Loop: Header=BB22_43 Depth=2
	s_and_b32 s18, vcc_lo, exec_lo
; %bb.45:                               ;   in Loop: Header=BB22_43 Depth=2
	s_and_not1_saveexec_b32 s19, s19
; %bb.46:                               ;   in Loop: Header=BB22_43 Depth=2
	v_sub_nc_u32_e32 v6, v5, v19
	s_or_b32 s18, s18, exec_lo
	ds_store_b8 v6, v18 offset:8192
; %bb.47:                               ;   in Loop: Header=BB22_43 Depth=2
	s_or_b32 exec_lo, exec_lo, s19
	s_mov_b32 s19, -1
	s_or_b32 s48, s48, exec_lo
	s_and_saveexec_b32 s49, s18
	s_cbranch_execz .LBB22_42
; %bb.48:                               ;   in Loop: Header=BB22_43 Depth=2
	v_add_nc_u32_e32 v4, 0x200, v4
	s_and_not1_b32 s48, s48, exec_lo
	s_delay_alu instid0(VALU_DEP_1)
	v_cmp_le_i32_e32 vcc_lo, s35, v4
	s_or_not1_b32 s19, vcc_lo, exec_lo
	s_branch .LBB22_42
.LBB22_49:                              ;   in Loop: Header=BB22_7 Depth=1
	s_or_b32 exec_lo, exec_lo, s42
	s_and_saveexec_b32 s18, s43
	s_delay_alu instid0(SALU_CYCLE_1)
	s_xor_b32 s18, exec_lo, s18
; %bb.50:                               ;   in Loop: Header=BB22_7 Depth=1
	v_min_i32_e32 v21, v5, v21
; %bb.51:                               ;   in Loop: Header=BB22_7 Depth=1
	s_or_b32 exec_lo, exec_lo, s18
.LBB22_52:                              ;   in Loop: Header=BB22_7 Depth=1
	s_delay_alu instid0(SALU_CYCLE_1)
	s_or_b32 exec_lo, exec_lo, s20
.LBB22_53:                              ;   in Loop: Header=BB22_7 Depth=1
	ds_bpermute_b32 v4, v13, v21
	s_wait_dscnt 0x0
	v_min_i32_e32 v4, v4, v21
	ds_bpermute_b32 v5, v14, v4
	s_wait_dscnt 0x0
	v_min_i32_e32 v4, v5, v4
	;; [unrolled: 3-line block ×3, first 2 shown]
	ds_bpermute_b32 v5, v16, v4
	s_and_saveexec_b32 s18, s6
	s_cbranch_execz .LBB22_58
; %bb.54:                               ;   in Loop: Header=BB22_7 Depth=1
	s_wait_dscnt 0x0
	v_min_i32_e32 v4, v5, v4
	s_mov_b32 s20, exec_lo
	s_brev_b32 s19, -2
.LBB22_55:                              ;   Parent Loop BB22_7 Depth=1
                                        ; =>  This Inner Loop Header: Depth=2
	s_ctz_i32_b32 s35, s20
	s_delay_alu instid0(VALU_DEP_1) | instid1(SALU_CYCLE_1)
	v_readlane_b32 s42, v4, s35
	s_lshl_b32 s35, 1, s35
	s_delay_alu instid0(SALU_CYCLE_1)
	s_and_not1_b32 s20, s20, s35
	s_min_i32 s19, s19, s42
	s_cmp_lg_u32 s20, 0
	s_cbranch_scc1 .LBB22_55
; %bb.56:                               ;   in Loop: Header=BB22_7 Depth=1
	v_mbcnt_lo_u32_b32 v4, exec_lo, 0
	s_mov_b32 s20, exec_lo
	s_delay_alu instid0(VALU_DEP_1)
	v_cmpx_eq_u32_e32 0, v4
	s_xor_b32 s20, exec_lo, s20
; %bb.57:                               ;   in Loop: Header=BB22_7 Depth=1
	v_mov_b32_e32 v4, s19
	ds_min_i32 v10, v4 offset:10240
.LBB22_58:                              ;   in Loop: Header=BB22_7 Depth=1
	s_or_b32 exec_lo, exec_lo, s18
	s_wait_dscnt 0x0
	v_dual_mov_b32 v5, v0 :: v_dual_add_nc_u32 v4, s46, v19
	s_mov_b32 s18, 0
	s_wait_storecnt 0x0
	s_barrier_signal -1
	s_barrier_wait -1
	s_branch .LBB22_60
.LBB22_59:                              ;   in Loop: Header=BB22_60 Depth=2
	s_or_b32 exec_lo, exec_lo, s19
	s_wait_storecnt_dscnt 0x0
	s_barrier_signal -1
	s_barrier_wait -1
	ds_load_b32 v6, v10 offset:60
	v_add_nc_u32_e32 v7, 0x200, v5
	v_cmp_lt_u32_e32 vcc_lo, 0x5ff, v5
	s_delay_alu instid0(VALU_DEP_2)
	v_mov_b32_e32 v5, v7
	s_or_b32 s18, vcc_lo, s18
	s_wait_dscnt 0x0
	v_add_nc_u32_e32 v17, v6, v17
	s_and_not1_b32 exec_lo, exec_lo, s18
	s_cbranch_execz .LBB22_6
.LBB22_60:                              ;   Parent Loop BB22_7 Depth=1
                                        ; =>  This Inner Loop Header: Depth=2
	ds_load_u8 v19, v5 offset:8192
	s_wait_dscnt 0x0
	s_barrier_signal -1
	s_barrier_wait -1
	v_cmp_ne_u16_e32 vcc_lo, 0, v19
	s_bcnt1_i32_b32 s19, vcc_lo
	s_delay_alu instid0(SALU_CYCLE_1)
	v_dual_mov_b32 v6, s19 :: v_dual_bitop2_b32 v28, vcc_lo, v2 bitop3:0x40
	s_mov_b32 s19, exec_lo
	ds_store_b32 v12, v6
	s_wait_dscnt 0x0
	s_barrier_signal -1
	s_barrier_wait -1
	ds_load_b128 v[6:9], v10
	ds_load_b128 v[20:23], v10 offset:16
	ds_load_b128 v[24:27], v10 offset:32
	s_wait_dscnt 0x2
	v_cndmask_b32_e64 v6, v6, 0, s2
	v_cndmask_b32_e64 v29, v7, 0, s3
	;; [unrolled: 1-line block ×4, first 2 shown]
	s_wait_dscnt 0x1
	v_cndmask_b32_e64 v20, v20, 0, s7
	v_bcnt_u32_b32 v28, v28, v6
	ds_load_b96 v[6:8], v10 offset:48
	v_cndmask_b32_e64 v21, v21, 0, s8
	v_cndmask_b32_e64 v22, v22, 0, s9
	v_add3_u32 v28, v28, v29, v30
	s_delay_alu instid0(VALU_DEP_1) | instskip(SKIP_3) | instid1(VALU_DEP_3)
	v_add3_u32 v9, v28, v9, v20
	v_cndmask_b32_e64 v20, v23, 0, s10
	s_wait_dscnt 0x1
	v_cndmask_b32_e64 v23, v24, 0, s11
	v_add3_u32 v9, v9, v21, v22
	v_cndmask_b32_e64 v21, v25, 0, s12
	v_cndmask_b32_e64 v22, v26, 0, s13
	s_delay_alu instid0(VALU_DEP_3)
	v_add3_u32 v9, v9, v20, v23
	v_cndmask_b32_e64 v20, v27, 0, s14
	s_wait_dscnt 0x0
	v_cndmask_b32_e64 v6, v6, 0, s15
	v_cndmask_b32_e64 v7, v7, 0, s16
	;; [unrolled: 1-line block ×3, first 2 shown]
	v_add3_u32 v9, v9, v21, v22
	s_delay_alu instid0(VALU_DEP_1) | instskip(SKIP_1) | instid1(VALU_DEP_2)
	v_add3_u32 v6, v9, v20, v6
	v_and_b32_e32 v9, 1, v19
	v_add3_u32 v6, v6, v7, v8
	s_delay_alu instid0(VALU_DEP_2)
	v_cmpx_eq_u32_e32 1, v9
	s_cbranch_execz .LBB22_62
; %bb.61:                               ;   in Loop: Header=BB22_60 Depth=2
	v_add_nc_u32_e32 v7, v4, v5
	s_delay_alu instid0(VALU_DEP_3)
	v_add_nc_u32_e32 v8, v6, v17
	global_store_b32 v8, v7, s[28:29] offset:-4 scale_offset
.LBB22_62:                              ;   in Loop: Header=BB22_60 Depth=2
	s_wait_xcnt 0x0
	s_or_b32 exec_lo, exec_lo, s19
	s_and_saveexec_b32 s19, s1
	s_cbranch_execz .LBB22_59
; %bb.63:                               ;   in Loop: Header=BB22_60 Depth=2
	ds_store_b32 v10, v6 offset:60
	s_branch .LBB22_59
.LBB22_64:
	s_endpgm
	.section	.rodata,"a",@progbits
	.p2align	6, 0x0
	.amdhsa_kernel _ZN9rocsparseL45csrgemm_symbolic_fill_block_per_row_multipassILj512ELj16ELj2048ELj32EiiEEvT4_PKS1_S3_PKT3_S3_S6_S3_S6_S3_S6_PS1_PS4_21rocsparse_index_base_S9_S9_S9_bb
		.amdhsa_group_segment_fixed_size 10244
		.amdhsa_private_segment_fixed_size 0
		.amdhsa_kernarg_size 116
		.amdhsa_user_sgpr_count 2
		.amdhsa_user_sgpr_dispatch_ptr 0
		.amdhsa_user_sgpr_queue_ptr 0
		.amdhsa_user_sgpr_kernarg_segment_ptr 1
		.amdhsa_user_sgpr_dispatch_id 0
		.amdhsa_user_sgpr_kernarg_preload_length 0
		.amdhsa_user_sgpr_kernarg_preload_offset 0
		.amdhsa_user_sgpr_private_segment_size 0
		.amdhsa_wavefront_size32 1
		.amdhsa_uses_dynamic_stack 0
		.amdhsa_enable_private_segment 0
		.amdhsa_system_sgpr_workgroup_id_x 1
		.amdhsa_system_sgpr_workgroup_id_y 0
		.amdhsa_system_sgpr_workgroup_id_z 0
		.amdhsa_system_sgpr_workgroup_info 0
		.amdhsa_system_vgpr_workitem_id 0
		.amdhsa_next_free_vgpr 31
		.amdhsa_next_free_sgpr 52
		.amdhsa_named_barrier_count 0
		.amdhsa_reserve_vcc 1
		.amdhsa_float_round_mode_32 0
		.amdhsa_float_round_mode_16_64 0
		.amdhsa_float_denorm_mode_32 3
		.amdhsa_float_denorm_mode_16_64 3
		.amdhsa_fp16_overflow 0
		.amdhsa_memory_ordered 1
		.amdhsa_forward_progress 1
		.amdhsa_inst_pref_size 19
		.amdhsa_round_robin_scheduling 0
		.amdhsa_exception_fp_ieee_invalid_op 0
		.amdhsa_exception_fp_denorm_src 0
		.amdhsa_exception_fp_ieee_div_zero 0
		.amdhsa_exception_fp_ieee_overflow 0
		.amdhsa_exception_fp_ieee_underflow 0
		.amdhsa_exception_fp_ieee_inexact 0
		.amdhsa_exception_int_div_zero 0
	.end_amdhsa_kernel
	.section	.text._ZN9rocsparseL45csrgemm_symbolic_fill_block_per_row_multipassILj512ELj16ELj2048ELj32EiiEEvT4_PKS1_S3_PKT3_S3_S6_S3_S6_S3_S6_PS1_PS4_21rocsparse_index_base_S9_S9_S9_bb,"axG",@progbits,_ZN9rocsparseL45csrgemm_symbolic_fill_block_per_row_multipassILj512ELj16ELj2048ELj32EiiEEvT4_PKS1_S3_PKT3_S3_S6_S3_S6_S3_S6_PS1_PS4_21rocsparse_index_base_S9_S9_S9_bb,comdat
.Lfunc_end22:
	.size	_ZN9rocsparseL45csrgemm_symbolic_fill_block_per_row_multipassILj512ELj16ELj2048ELj32EiiEEvT4_PKS1_S3_PKT3_S3_S6_S3_S6_S3_S6_PS1_PS4_21rocsparse_index_base_S9_S9_S9_bb, .Lfunc_end22-_ZN9rocsparseL45csrgemm_symbolic_fill_block_per_row_multipassILj512ELj16ELj2048ELj32EiiEEvT4_PKS1_S3_PKT3_S3_S6_S3_S6_S3_S6_PS1_PS4_21rocsparse_index_base_S9_S9_S9_bb
                                        ; -- End function
	.set _ZN9rocsparseL45csrgemm_symbolic_fill_block_per_row_multipassILj512ELj16ELj2048ELj32EiiEEvT4_PKS1_S3_PKT3_S3_S6_S3_S6_S3_S6_PS1_PS4_21rocsparse_index_base_S9_S9_S9_bb.num_vgpr, 31
	.set _ZN9rocsparseL45csrgemm_symbolic_fill_block_per_row_multipassILj512ELj16ELj2048ELj32EiiEEvT4_PKS1_S3_PKT3_S3_S6_S3_S6_S3_S6_PS1_PS4_21rocsparse_index_base_S9_S9_S9_bb.num_agpr, 0
	.set _ZN9rocsparseL45csrgemm_symbolic_fill_block_per_row_multipassILj512ELj16ELj2048ELj32EiiEEvT4_PKS1_S3_PKT3_S3_S6_S3_S6_S3_S6_PS1_PS4_21rocsparse_index_base_S9_S9_S9_bb.numbered_sgpr, 52
	.set _ZN9rocsparseL45csrgemm_symbolic_fill_block_per_row_multipassILj512ELj16ELj2048ELj32EiiEEvT4_PKS1_S3_PKT3_S3_S6_S3_S6_S3_S6_PS1_PS4_21rocsparse_index_base_S9_S9_S9_bb.num_named_barrier, 0
	.set _ZN9rocsparseL45csrgemm_symbolic_fill_block_per_row_multipassILj512ELj16ELj2048ELj32EiiEEvT4_PKS1_S3_PKT3_S3_S6_S3_S6_S3_S6_PS1_PS4_21rocsparse_index_base_S9_S9_S9_bb.private_seg_size, 0
	.set _ZN9rocsparseL45csrgemm_symbolic_fill_block_per_row_multipassILj512ELj16ELj2048ELj32EiiEEvT4_PKS1_S3_PKT3_S3_S6_S3_S6_S3_S6_PS1_PS4_21rocsparse_index_base_S9_S9_S9_bb.uses_vcc, 1
	.set _ZN9rocsparseL45csrgemm_symbolic_fill_block_per_row_multipassILj512ELj16ELj2048ELj32EiiEEvT4_PKS1_S3_PKT3_S3_S6_S3_S6_S3_S6_PS1_PS4_21rocsparse_index_base_S9_S9_S9_bb.uses_flat_scratch, 0
	.set _ZN9rocsparseL45csrgemm_symbolic_fill_block_per_row_multipassILj512ELj16ELj2048ELj32EiiEEvT4_PKS1_S3_PKT3_S3_S6_S3_S6_S3_S6_PS1_PS4_21rocsparse_index_base_S9_S9_S9_bb.has_dyn_sized_stack, 0
	.set _ZN9rocsparseL45csrgemm_symbolic_fill_block_per_row_multipassILj512ELj16ELj2048ELj32EiiEEvT4_PKS1_S3_PKT3_S3_S6_S3_S6_S3_S6_PS1_PS4_21rocsparse_index_base_S9_S9_S9_bb.has_recursion, 0
	.set _ZN9rocsparseL45csrgemm_symbolic_fill_block_per_row_multipassILj512ELj16ELj2048ELj32EiiEEvT4_PKS1_S3_PKT3_S3_S6_S3_S6_S3_S6_PS1_PS4_21rocsparse_index_base_S9_S9_S9_bb.has_indirect_call, 0
	.section	.AMDGPU.csdata,"",@progbits
; Kernel info:
; codeLenInByte = 2412
; TotalNumSgprs: 54
; NumVgprs: 31
; ScratchSize: 0
; MemoryBound: 0
; FloatMode: 240
; IeeeMode: 1
; LDSByteSize: 10244 bytes/workgroup (compile time only)
; SGPRBlocks: 0
; VGPRBlocks: 1
; NumSGPRsForWavesPerEU: 54
; NumVGPRsForWavesPerEU: 31
; NamedBarCnt: 0
; Occupancy: 16
; WaveLimiterHint : 1
; COMPUTE_PGM_RSRC2:SCRATCH_EN: 0
; COMPUTE_PGM_RSRC2:USER_SGPR: 2
; COMPUTE_PGM_RSRC2:TRAP_HANDLER: 0
; COMPUTE_PGM_RSRC2:TGID_X_EN: 1
; COMPUTE_PGM_RSRC2:TGID_Y_EN: 0
; COMPUTE_PGM_RSRC2:TGID_Z_EN: 0
; COMPUTE_PGM_RSRC2:TIDIG_COMP_CNT: 0
	.section	.text._ZN9rocsparseL45csrgemm_symbolic_fill_block_per_row_multipassILj512ELj16ELj2048ELj64EiiEEvT4_PKS1_S3_PKT3_S3_S6_S3_S6_S3_S6_PS1_PS4_21rocsparse_index_base_S9_S9_S9_bb,"axG",@progbits,_ZN9rocsparseL45csrgemm_symbolic_fill_block_per_row_multipassILj512ELj16ELj2048ELj64EiiEEvT4_PKS1_S3_PKT3_S3_S6_S3_S6_S3_S6_PS1_PS4_21rocsparse_index_base_S9_S9_S9_bb,comdat
	.globl	_ZN9rocsparseL45csrgemm_symbolic_fill_block_per_row_multipassILj512ELj16ELj2048ELj64EiiEEvT4_PKS1_S3_PKT3_S3_S6_S3_S6_S3_S6_PS1_PS4_21rocsparse_index_base_S9_S9_S9_bb ; -- Begin function _ZN9rocsparseL45csrgemm_symbolic_fill_block_per_row_multipassILj512ELj16ELj2048ELj64EiiEEvT4_PKS1_S3_PKT3_S3_S6_S3_S6_S3_S6_PS1_PS4_21rocsparse_index_base_S9_S9_S9_bb
	.p2align	8
	.type	_ZN9rocsparseL45csrgemm_symbolic_fill_block_per_row_multipassILj512ELj16ELj2048ELj64EiiEEvT4_PKS1_S3_PKT3_S3_S6_S3_S6_S3_S6_PS1_PS4_21rocsparse_index_base_S9_S9_S9_bb,@function
_ZN9rocsparseL45csrgemm_symbolic_fill_block_per_row_multipassILj512ELj16ELj2048ELj64EiiEEvT4_PKS1_S3_PKT3_S3_S6_S3_S6_S3_S6_PS1_PS4_21rocsparse_index_base_S9_S9_S9_bb: ; @_ZN9rocsparseL45csrgemm_symbolic_fill_block_per_row_multipassILj512ELj16ELj2048ELj64EiiEEvT4_PKS1_S3_PKT3_S3_S6_S3_S6_S3_S6_PS1_PS4_21rocsparse_index_base_S9_S9_S9_bb
; %bb.0:
	s_clause 0x2
	s_load_b128 s[12:15], s[0:1], 0x8
	s_load_b32 s4, s[0:1], 0x70
	s_load_b64 s[2:3], s[0:1], 0x18
	s_getreg_b32 s8, hwreg(HW_REG_IB_STS2, 6, 4)
	s_wait_kmcnt 0x0
	s_load_b32 s5, s[12:13], 0x0
	s_load_b128 s[36:39], s[0:1], 0x60
	s_bitcmp1_b32 s4, 0
	s_wait_xcnt 0x0
	s_mov_b32 s13, 0
	s_cselect_b32 s10, -1, 0
	s_bfe_u32 s6, ttmp6, 0x4000c
	s_and_b32 s7, ttmp6, 15
	s_add_co_i32 s6, s6, 1
	s_delay_alu instid0(SALU_CYCLE_1) | instskip(NEXT) | instid1(SALU_CYCLE_1)
	s_mul_i32 s6, ttmp9, s6
	s_add_co_i32 s7, s7, s6
	s_cmp_eq_u32 s8, 0
	s_cselect_b32 s6, ttmp9, s7
	s_mov_b32 s7, 0
	s_wait_kmcnt 0x0
	s_add_co_i32 s5, s5, s6
	s_bitcmp0_b32 s4, 0
	s_load_b32 s8, s[14:15], s5 offset:0x0 scale_offset
	s_cbranch_scc0 .LBB23_3
; %bb.1:
	s_and_not1_b32 vcc_lo, exec_lo, s10
	s_cbranch_vccz .LBB23_4
.LBB23_2:
	s_load_b32 s33, s[0:1], 0x0
	s_wait_kmcnt 0x0
	s_cmp_lt_i32 s33, 1
	s_cbranch_scc0 .LBB23_5
	s_branch .LBB23_64
.LBB23_3:
	s_wait_kmcnt 0x0
	s_ashr_i32 s9, s8, 31
	s_delay_alu instid0(SALU_CYCLE_1) | instskip(NEXT) | instid1(SALU_CYCLE_1)
	s_lshl_b64 s[6:7], s[8:9], 2
	s_add_nc_u64 s[6:7], s[2:3], s[6:7]
	s_load_b32 s5, s[6:7], 0x0
	s_wait_kmcnt 0x0
	s_sub_co_i32 s7, s5, s36
	s_and_not1_b32 vcc_lo, exec_lo, s10
	s_cbranch_vccnz .LBB23_2
.LBB23_4:
	s_wait_kmcnt 0x0
	s_ashr_i32 s9, s8, 31
	s_delay_alu instid0(SALU_CYCLE_1) | instskip(NEXT) | instid1(SALU_CYCLE_1)
	s_lshl_b64 s[12:13], s[8:9], 2
	s_add_nc_u64 s[2:3], s[2:3], s[12:13]
	s_load_b32 s2, s[2:3], 0x4
	s_wait_kmcnt 0x0
	s_sub_co_i32 s13, s2, s36
	s_load_b32 s33, s[0:1], 0x0
	s_wait_kmcnt 0x0
	s_cmp_lt_i32 s33, 1
	s_cbranch_scc1 .LBB23_64
.LBB23_5:
	s_clause 0x1
	s_load_b256 s[16:23], s[0:1], 0x40
	s_load_b256 s[24:31], s[0:1], 0x20
	v_mbcnt_lo_u32_b32 v4, -1, 0
	s_bitcmp1_b32 s4, 8
	v_dual_lshrrev_b32 v2, 4, v0 :: v_dual_bitop2_b32 v1, 15, v0 bitop3:0x40
	s_cselect_b32 s34, -1, 0
	s_ashr_i32 s9, s8, 31
	v_xor_b32_e32 v6, 4, v4
	v_xor_b32_e32 v5, 8, v4
	s_lshl_b64 s[14:15], s[8:9], 2
	v_dual_mov_b32 v10, 0 :: v_dual_add_nc_u32 v11, s7, v2
	s_wait_xcnt 0x0
	v_cmp_eq_u32_e64 s0, 0, v0
	v_subrev_nc_u32_e32 v3, s39, v0
	v_cmp_eq_u32_e64 s1, 0x1ff, v0
	v_cmp_gt_u32_e64 s2, 64, v0
	v_cmp_gt_i32_e32 vcc_lo, s13, v11
	v_cmp_gt_u32_e64 s3, 0x80, v0
	v_cmp_gt_u32_e64 s4, 0xc0, v0
	s_wait_kmcnt 0x0
	s_add_nc_u64 s[8:9], s[18:19], s[14:15]
	v_cmp_gt_u32_e64 s5, 0x100, v0
	s_load_b32 s9, s[8:9], 0x0
	s_wait_xcnt 0x0
	v_cmp_gt_i32_e64 s8, 32, v5
	v_cmp_gt_u32_e64 s6, 0x140, v0
	v_cmp_eq_u32_e64 s7, 15, v1
	v_dual_mov_b32 v18, 1 :: v_dual_mov_b32 v19, 0
	s_delay_alu instid0(VALU_DEP_4)
	v_dual_cndmask_b32 v5, v4, v5, s8 :: v_dual_bitop2_b32 v7, 2, v4 bitop3:0x14
	v_cmp_gt_i32_e64 s8, 32, v6
	s_add_nc_u64 s[14:15], s[30:31], s[14:15]
	s_and_b32 s18, s10, vcc_lo
	v_lshlrev_b32_e32 v13, 2, v5
	s_mov_b32 s19, -1
	v_cndmask_b32_e64 v6, v4, v6, s8
	v_cmp_gt_i32_e64 s8, 32, v7
	v_xor_b32_e32 v8, 1, v4
	s_delay_alu instid0(VALU_DEP_3) | instskip(NEXT) | instid1(VALU_DEP_3)
	v_dual_lshlrev_b32 v14, 2, v6 :: v_dual_bitop2_b32 v9, 31, v4 bitop3:0x14
	v_cndmask_b32_e64 v7, v4, v7, s8
	s_delay_alu instid0(VALU_DEP_3)
	v_cmp_gt_i32_e64 s8, 32, v8
	v_and_b32_e32 v12, 28, v2
	s_wait_kmcnt 0x0
	s_sub_co_i32 s11, s9, s38
	v_lshrrev_b32_e64 v2, v9, -1
	v_cmp_gt_u32_e64 s9, 0x1c0, v0
	v_dual_cndmask_b32 v4, v4, v8, s8 :: v_dual_lshlrev_b32 v15, 2, v7
	v_cmp_gt_u32_e64 s8, 0x180, v0
	v_dual_mov_b32 v20, 0x800 :: v_dual_mov_b32 v17, s11
	s_delay_alu instid0(VALU_DEP_3)
	v_lshlrev_b32_e32 v16, 2, v4
	s_branch .LBB23_7
.LBB23_6:                               ;   in Loop: Header=BB23_7 Depth=1
	s_or_b32 exec_lo, exec_lo, s10
	ds_load_b32 v19, v10 offset:10240
	s_wait_dscnt 0x0
	s_barrier_signal -1
	s_barrier_wait -1
	v_cmp_le_i32_e32 vcc_lo, s33, v19
	v_add_nc_u32_e32 v20, 0x800, v19
	s_cbranch_vccnz .LBB23_64
.LBB23_7:                               ; =>This Loop Header: Depth=1
                                        ;     Child Loop BB23_16 Depth 2
                                        ;       Child Loop BB23_22 Depth 3
                                        ;     Child Loop BB23_43 Depth 2
                                        ;     Child Loop BB23_55 Depth 2
	;; [unrolled: 1-line block ×3, first 2 shown]
	s_and_saveexec_b32 s10, s19
	s_cbranch_execnz .LBB23_34
; %bb.8:                                ;   in Loop: Header=BB23_7 Depth=1
	s_or_b32 exec_lo, exec_lo, s10
	s_and_saveexec_b32 s10, s19
	s_cbranch_execnz .LBB23_35
.LBB23_9:                               ;   in Loop: Header=BB23_7 Depth=1
	s_or_b32 exec_lo, exec_lo, s10
	s_and_saveexec_b32 s10, s19
	s_cbranch_execnz .LBB23_36
.LBB23_10:                              ;   in Loop: Header=BB23_7 Depth=1
	s_or_b32 exec_lo, exec_lo, s10
	s_and_saveexec_b32 s10, s19
	s_cbranch_execnz .LBB23_37
.LBB23_11:                              ;   in Loop: Header=BB23_7 Depth=1
	s_or_b32 exec_lo, exec_lo, s10
	s_and_saveexec_b32 s10, s0
.LBB23_12:                              ;   in Loop: Header=BB23_7 Depth=1
	v_mov_b32_e32 v4, s33
	ds_store_b32 v10, v4 offset:10240
.LBB23_13:                              ;   in Loop: Header=BB23_7 Depth=1
	s_or_b32 exec_lo, exec_lo, s10
	v_mov_b32_e32 v21, s33
	s_wait_dscnt 0x0
	s_barrier_signal -1
	s_barrier_wait -1
	s_and_saveexec_b32 s30, s18
	s_cbranch_execz .LBB23_39
; %bb.14:                               ;   in Loop: Header=BB23_7 Depth=1
	v_cmp_ne_u32_e64 s10, 0, v19
	v_dual_mov_b32 v21, s33 :: v_dual_mov_b32 v4, v11
	s_mov_b32 s31, 0
	s_branch .LBB23_16
.LBB23_15:                              ;   in Loop: Header=BB23_16 Depth=2
	s_wait_xcnt 0x0
	s_or_b32 exec_lo, exec_lo, s11
	v_add_nc_u32_e32 v4, 32, v4
	s_delay_alu instid0(VALU_DEP_1) | instskip(SKIP_1) | instid1(SALU_CYCLE_1)
	v_cmp_le_i32_e32 vcc_lo, s13, v4
	s_or_b32 s31, vcc_lo, s31
	s_and_not1_b32 exec_lo, exec_lo, s31
	s_cbranch_execz .LBB23_38
.LBB23_16:                              ;   Parent Loop BB23_7 Depth=1
                                        ; =>  This Loop Header: Depth=2
                                        ;       Child Loop BB23_22 Depth 3
	global_load_b32 v6, v4, s[24:25] scale_offset
	v_ashrrev_i32_e32 v5, 31, v4
	s_and_b32 vcc_lo, exec_lo, s10
	s_wait_loadcnt_dscnt 0x0
	v_subrev_nc_u32_e32 v8, s36, v6
	s_delay_alu instid0(VALU_DEP_2) | instskip(NEXT) | instid1(VALU_DEP_2)
	v_lshl_add_u64 v[6:7], v[4:5], 2, s[22:23]
	v_ashrrev_i32_e32 v9, 31, v8
	s_cbranch_vccz .LBB23_33
; %bb.17:                               ;   in Loop: Header=BB23_16 Depth=2
	global_load_b32 v5, v[6:7], off
	s_cbranch_execnz .LBB23_19
.LBB23_18:                              ;   in Loop: Header=BB23_16 Depth=2
	s_wait_loadcnt 0x0
	global_load_b32 v5, v8, s[26:27] scale_offset
	s_wait_loadcnt 0x0
	v_subrev_nc_u32_e32 v5, s37, v5
.LBB23_19:                              ;   in Loop: Header=BB23_16 Depth=2
	s_wait_xcnt 0x0
	v_lshl_add_u64 v[8:9], v[8:9], 2, s[26:27]
	s_wait_loadcnt 0x0
	s_delay_alu instid0(VALU_DEP_2)
	v_add_nc_u32_e32 v5, v5, v1
	s_mov_b32 s35, exec_lo
	global_load_b32 v8, v[8:9], off offset:4
	s_wait_loadcnt 0x0
	s_wait_xcnt 0x0
	v_subrev_nc_u32_e32 v8, s37, v8
	s_delay_alu instid0(VALU_DEP_1)
	v_cmpx_lt_i32_e64 v5, v8
	s_cbranch_execz .LBB23_31
; %bb.20:                               ;   in Loop: Header=BB23_16 Depth=2
	v_mov_b32_e32 v23, v5
	s_mov_b32 s41, 0
                                        ; implicit-def: $sgpr40
                                        ; implicit-def: $sgpr42
	s_branch .LBB23_22
.LBB23_21:                              ;   in Loop: Header=BB23_22 Depth=3
	s_or_b32 exec_lo, exec_lo, s43
	s_delay_alu instid0(SALU_CYCLE_1) | instskip(NEXT) | instid1(SALU_CYCLE_1)
	s_and_b32 s11, exec_lo, s12
	s_or_b32 s41, s11, s41
	s_and_not1_b32 s11, s40, exec_lo
	s_and_b32 s12, s42, exec_lo
	s_delay_alu instid0(SALU_CYCLE_1)
	s_or_b32 s40, s11, s12
	s_and_not1_b32 exec_lo, exec_lo, s41
	s_cbranch_execz .LBB23_28
.LBB23_22:                              ;   Parent Loop BB23_7 Depth=1
                                        ;     Parent Loop BB23_16 Depth=2
                                        ; =>    This Inner Loop Header: Depth=3
	global_load_b32 v22, v23, s[28:29] scale_offset
	v_mov_b32_e32 v9, v23
	s_wait_loadcnt 0x0
	v_subrev_nc_u32_e32 v22, s37, v22
	s_delay_alu instid0(VALU_DEP_1)
	v_cmp_lt_i32_e64 s11, v22, v19
	v_cmp_ge_i32_e64 s12, v22, v20
	v_cmp_lt_i32_e32 vcc_lo, v22, v20
	s_or_b32 s12, s11, s12
	s_mov_b32 s11, 0
	s_wait_xcnt 0x0
	s_and_saveexec_b32 s43, s12
	s_delay_alu instid0(SALU_CYCLE_1)
	s_xor_b32 s12, exec_lo, s43
; %bb.23:                               ;   in Loop: Header=BB23_22 Depth=3
	s_and_b32 s11, vcc_lo, exec_lo
; %bb.24:                               ;   in Loop: Header=BB23_22 Depth=3
	s_and_not1_saveexec_b32 s12, s12
; %bb.25:                               ;   in Loop: Header=BB23_22 Depth=3
	v_sub_nc_u32_e32 v23, v22, v19
	s_or_b32 s11, s11, exec_lo
	ds_store_b8 v23, v18 offset:8192
; %bb.26:                               ;   in Loop: Header=BB23_22 Depth=3
	s_or_b32 exec_lo, exec_lo, s12
	s_mov_b32 s12, -1
	s_or_b32 s42, s42, exec_lo
                                        ; implicit-def: $vgpr23
	s_and_saveexec_b32 s43, s11
	s_cbranch_execz .LBB23_21
; %bb.27:                               ;   in Loop: Header=BB23_22 Depth=3
	v_add_nc_u32_e32 v23, 16, v9
	s_and_not1_b32 s42, s42, exec_lo
	s_delay_alu instid0(VALU_DEP_1)
	v_cmp_ge_i32_e32 vcc_lo, v23, v8
	s_or_not1_b32 s12, vcc_lo, exec_lo
	s_branch .LBB23_21
.LBB23_28:                              ;   in Loop: Header=BB23_16 Depth=2
	s_or_b32 exec_lo, exec_lo, s41
	s_and_saveexec_b32 s11, s40
	s_delay_alu instid0(SALU_CYCLE_1)
	s_xor_b32 s11, exec_lo, s11
; %bb.29:                               ;   in Loop: Header=BB23_16 Depth=2
	v_dual_mov_b32 v5, v9 :: v_dual_min_i32 v21, v22, v21
; %bb.30:                               ;   in Loop: Header=BB23_16 Depth=2
	s_or_b32 exec_lo, exec_lo, s11
.LBB23_31:                              ;   in Loop: Header=BB23_16 Depth=2
	s_delay_alu instid0(SALU_CYCLE_1)
	s_or_b32 exec_lo, exec_lo, s35
	ds_bpermute_b32 v8, v13, v5
	s_wait_dscnt 0x0
	v_min_i32_e32 v5, v8, v5
	ds_bpermute_b32 v8, v14, v5
	s_wait_dscnt 0x0
	v_min_i32_e32 v5, v8, v5
	;; [unrolled: 3-line block ×3, first 2 shown]
	ds_bpermute_b32 v8, v16, v5
	s_and_saveexec_b32 s11, s7
	s_cbranch_execz .LBB23_15
; %bb.32:                               ;   in Loop: Header=BB23_16 Depth=2
	s_wait_dscnt 0x0
	v_min_i32_e32 v5, v8, v5
	global_store_b32 v[6:7], v5, off
	s_branch .LBB23_15
.LBB23_33:                              ;   in Loop: Header=BB23_16 Depth=2
                                        ; implicit-def: $vgpr5
	s_branch .LBB23_18
.LBB23_34:                              ;   in Loop: Header=BB23_7 Depth=1
	ds_store_b8 v0, v10 offset:8192
	s_or_b32 exec_lo, exec_lo, s10
	s_and_saveexec_b32 s10, s19
	s_cbranch_execz .LBB23_9
.LBB23_35:                              ;   in Loop: Header=BB23_7 Depth=1
	ds_store_b8 v0, v10 offset:8704
	s_or_b32 exec_lo, exec_lo, s10
	s_and_saveexec_b32 s10, s19
	s_cbranch_execz .LBB23_10
.LBB23_36:                              ;   in Loop: Header=BB23_7 Depth=1
	ds_store_b8 v0, v10 offset:9216
	s_or_b32 exec_lo, exec_lo, s10
	s_and_saveexec_b32 s10, s19
	s_cbranch_execz .LBB23_11
.LBB23_37:                              ;   in Loop: Header=BB23_7 Depth=1
	ds_store_b8 v0, v10 offset:9728
	s_or_b32 exec_lo, exec_lo, s10
	s_and_saveexec_b32 s10, s0
	s_cbranch_execnz .LBB23_12
	s_branch .LBB23_13
.LBB23_38:                              ;   in Loop: Header=BB23_7 Depth=1
	s_or_b32 exec_lo, exec_lo, s31
.LBB23_39:                              ;   in Loop: Header=BB23_7 Depth=1
	s_delay_alu instid0(SALU_CYCLE_1) | instskip(NEXT) | instid1(SALU_CYCLE_1)
	s_or_b32 exec_lo, exec_lo, s30
	s_and_not1_b32 vcc_lo, exec_lo, s34
	s_cbranch_vccnz .LBB23_53
; %bb.40:                               ;   in Loop: Header=BB23_7 Depth=1
	s_load_b64 s[10:11], s[14:15], 0x0
	s_mov_b32 s12, exec_lo
	s_wait_kmcnt 0x0
	v_add_nc_u32_e32 v4, s10, v3
	s_sub_co_i32 s30, s11, s39
	s_delay_alu instid0(VALU_DEP_1) | instid1(SALU_CYCLE_1)
	v_cmpx_gt_i32_e64 s30, v4
	s_cbranch_execz .LBB23_52
; %bb.41:                               ;   in Loop: Header=BB23_7 Depth=1
	s_mov_b32 s31, 0
                                        ; implicit-def: $sgpr35
                                        ; implicit-def: $sgpr40
	s_branch .LBB23_43
.LBB23_42:                              ;   in Loop: Header=BB23_43 Depth=2
	s_or_b32 exec_lo, exec_lo, s41
	s_delay_alu instid0(SALU_CYCLE_1) | instskip(NEXT) | instid1(SALU_CYCLE_1)
	s_and_b32 s10, exec_lo, s11
	s_or_b32 s31, s10, s31
	s_and_not1_b32 s10, s35, exec_lo
	s_and_b32 s11, s40, exec_lo
	s_delay_alu instid0(SALU_CYCLE_1)
	s_or_b32 s35, s10, s11
	s_and_not1_b32 exec_lo, exec_lo, s31
	s_cbranch_execz .LBB23_49
.LBB23_43:                              ;   Parent Loop BB23_7 Depth=1
                                        ; =>  This Inner Loop Header: Depth=2
	global_load_b32 v5, v4, s[16:17] scale_offset
	s_wait_loadcnt 0x0
	v_subrev_nc_u32_e32 v5, s39, v5
	s_delay_alu instid0(VALU_DEP_1)
	v_cmp_lt_i32_e64 s10, v5, v19
	v_cmp_ge_i32_e64 s11, v5, v20
	v_cmp_lt_i32_e32 vcc_lo, v5, v20
	s_or_b32 s11, s10, s11
	s_mov_b32 s10, 0
	s_wait_xcnt 0x0
	s_and_saveexec_b32 s41, s11
	s_delay_alu instid0(SALU_CYCLE_1)
	s_xor_b32 s11, exec_lo, s41
; %bb.44:                               ;   in Loop: Header=BB23_43 Depth=2
	s_and_b32 s10, vcc_lo, exec_lo
; %bb.45:                               ;   in Loop: Header=BB23_43 Depth=2
	s_and_not1_saveexec_b32 s11, s11
; %bb.46:                               ;   in Loop: Header=BB23_43 Depth=2
	v_sub_nc_u32_e32 v6, v5, v19
	s_or_b32 s10, s10, exec_lo
	ds_store_b8 v6, v18 offset:8192
; %bb.47:                               ;   in Loop: Header=BB23_43 Depth=2
	s_or_b32 exec_lo, exec_lo, s11
	s_mov_b32 s11, -1
	s_or_b32 s40, s40, exec_lo
	s_and_saveexec_b32 s41, s10
	s_cbranch_execz .LBB23_42
; %bb.48:                               ;   in Loop: Header=BB23_43 Depth=2
	v_add_nc_u32_e32 v4, 0x200, v4
	s_and_not1_b32 s40, s40, exec_lo
	s_delay_alu instid0(VALU_DEP_1)
	v_cmp_le_i32_e32 vcc_lo, s30, v4
	s_or_not1_b32 s11, vcc_lo, exec_lo
	s_branch .LBB23_42
.LBB23_49:                              ;   in Loop: Header=BB23_7 Depth=1
	s_or_b32 exec_lo, exec_lo, s31
	s_and_saveexec_b32 s10, s35
	s_delay_alu instid0(SALU_CYCLE_1)
	s_xor_b32 s10, exec_lo, s10
; %bb.50:                               ;   in Loop: Header=BB23_7 Depth=1
	v_min_i32_e32 v21, v5, v21
; %bb.51:                               ;   in Loop: Header=BB23_7 Depth=1
	s_or_b32 exec_lo, exec_lo, s10
.LBB23_52:                              ;   in Loop: Header=BB23_7 Depth=1
	s_delay_alu instid0(SALU_CYCLE_1)
	s_or_b32 exec_lo, exec_lo, s12
.LBB23_53:                              ;   in Loop: Header=BB23_7 Depth=1
	ds_bpermute_b32 v4, v13, v21
	s_wait_dscnt 0x0
	v_min_i32_e32 v4, v4, v21
	ds_bpermute_b32 v5, v14, v4
	s_wait_dscnt 0x0
	v_min_i32_e32 v4, v5, v4
	;; [unrolled: 3-line block ×3, first 2 shown]
	ds_bpermute_b32 v5, v16, v4
	s_and_saveexec_b32 s10, s7
	s_cbranch_execz .LBB23_58
; %bb.54:                               ;   in Loop: Header=BB23_7 Depth=1
	s_wait_dscnt 0x0
	v_min_i32_e32 v4, v5, v4
	s_mov_b32 s12, exec_lo
	s_brev_b32 s11, -2
.LBB23_55:                              ;   Parent Loop BB23_7 Depth=1
                                        ; =>  This Inner Loop Header: Depth=2
	s_ctz_i32_b32 s30, s12
	s_delay_alu instid0(VALU_DEP_1) | instid1(SALU_CYCLE_1)
	v_readlane_b32 s31, v4, s30
	s_lshl_b32 s30, 1, s30
	s_delay_alu instid0(SALU_CYCLE_1)
	s_and_not1_b32 s12, s12, s30
	s_min_i32 s11, s11, s31
	s_cmp_lg_u32 s12, 0
	s_cbranch_scc1 .LBB23_55
; %bb.56:                               ;   in Loop: Header=BB23_7 Depth=1
	v_mbcnt_lo_u32_b32 v4, exec_lo, 0
	s_mov_b32 s12, exec_lo
	s_delay_alu instid0(VALU_DEP_1)
	v_cmpx_eq_u32_e32 0, v4
	s_xor_b32 s12, exec_lo, s12
; %bb.57:                               ;   in Loop: Header=BB23_7 Depth=1
	v_mov_b32_e32 v4, s11
	ds_min_i32 v10, v4 offset:10240
.LBB23_58:                              ;   in Loop: Header=BB23_7 Depth=1
	s_or_b32 exec_lo, exec_lo, s10
	s_wait_dscnt 0x0
	v_dual_mov_b32 v5, v0 :: v_dual_add_nc_u32 v4, s38, v19
	s_mov_b32 s10, 0
	s_wait_storecnt 0x0
	s_barrier_signal -1
	s_barrier_wait -1
	s_branch .LBB23_60
.LBB23_59:                              ;   in Loop: Header=BB23_60 Depth=2
	s_or_b32 exec_lo, exec_lo, s11
	s_wait_storecnt_dscnt 0x0
	s_barrier_signal -1
	s_barrier_wait -1
	ds_load_b32 v6, v10 offset:28
	v_add_nc_u32_e32 v7, 0x200, v5
	v_cmp_lt_u32_e32 vcc_lo, 0x5ff, v5
	s_delay_alu instid0(VALU_DEP_2)
	v_mov_b32_e32 v5, v7
	s_or_b32 s10, vcc_lo, s10
	s_wait_dscnt 0x0
	v_add_nc_u32_e32 v17, v6, v17
	s_and_not1_b32 exec_lo, exec_lo, s10
	s_cbranch_execz .LBB23_6
.LBB23_60:                              ;   Parent Loop BB23_7 Depth=1
                                        ; =>  This Inner Loop Header: Depth=2
	ds_load_u8 v19, v5 offset:8192
	s_wait_dscnt 0x0
	s_barrier_signal -1
	s_barrier_wait -1
	v_cmp_ne_u16_e32 vcc_lo, 0, v19
	s_bcnt1_i32_b32 s11, vcc_lo
	s_delay_alu instid0(SALU_CYCLE_1)
	v_dual_mov_b32 v6, s11 :: v_dual_bitop2_b32 v23, vcc_lo, v2 bitop3:0x40
	s_mov_b32 s11, exec_lo
	ds_store_b32 v12, v6
	s_wait_dscnt 0x0
	s_barrier_signal -1
	s_barrier_wait -1
	ds_load_b128 v[6:9], v10
	ds_load_b96 v[20:22], v10 offset:16
	s_wait_dscnt 0x1
	v_cndmask_b32_e64 v6, v6, 0, s2
	v_cndmask_b32_e64 v7, v7, 0, s3
	;; [unrolled: 1-line block ×4, first 2 shown]
	s_wait_dscnt 0x0
	v_cndmask_b32_e64 v20, v20, 0, s6
	v_bcnt_u32_b32 v6, v23, v6
	s_delay_alu instid0(VALU_DEP_1) | instskip(SKIP_2) | instid1(VALU_DEP_3)
	v_add3_u32 v6, v6, v7, v8
	v_cndmask_b32_e64 v7, v21, 0, s8
	v_cndmask_b32_e64 v8, v22, 0, s9
	v_add3_u32 v6, v6, v9, v20
	v_and_b32_e32 v9, 1, v19
	s_delay_alu instid0(VALU_DEP_2) | instskip(NEXT) | instid1(VALU_DEP_2)
	v_add3_u32 v6, v6, v7, v8
	v_cmpx_eq_u32_e32 1, v9
	s_cbranch_execz .LBB23_62
; %bb.61:                               ;   in Loop: Header=BB23_60 Depth=2
	v_add_nc_u32_e32 v7, v4, v5
	s_delay_alu instid0(VALU_DEP_3)
	v_add_nc_u32_e32 v8, v6, v17
	global_store_b32 v8, v7, s[20:21] offset:-4 scale_offset
.LBB23_62:                              ;   in Loop: Header=BB23_60 Depth=2
	s_wait_xcnt 0x0
	s_or_b32 exec_lo, exec_lo, s11
	s_and_saveexec_b32 s11, s1
	s_cbranch_execz .LBB23_59
; %bb.63:                               ;   in Loop: Header=BB23_60 Depth=2
	ds_store_b32 v10, v6 offset:28
	s_branch .LBB23_59
.LBB23_64:
	s_endpgm
	.section	.rodata,"a",@progbits
	.p2align	6, 0x0
	.amdhsa_kernel _ZN9rocsparseL45csrgemm_symbolic_fill_block_per_row_multipassILj512ELj16ELj2048ELj64EiiEEvT4_PKS1_S3_PKT3_S3_S6_S3_S6_S3_S6_PS1_PS4_21rocsparse_index_base_S9_S9_S9_bb
		.amdhsa_group_segment_fixed_size 10244
		.amdhsa_private_segment_fixed_size 0
		.amdhsa_kernarg_size 116
		.amdhsa_user_sgpr_count 2
		.amdhsa_user_sgpr_dispatch_ptr 0
		.amdhsa_user_sgpr_queue_ptr 0
		.amdhsa_user_sgpr_kernarg_segment_ptr 1
		.amdhsa_user_sgpr_dispatch_id 0
		.amdhsa_user_sgpr_kernarg_preload_length 0
		.amdhsa_user_sgpr_kernarg_preload_offset 0
		.amdhsa_user_sgpr_private_segment_size 0
		.amdhsa_wavefront_size32 1
		.amdhsa_uses_dynamic_stack 0
		.amdhsa_enable_private_segment 0
		.amdhsa_system_sgpr_workgroup_id_x 1
		.amdhsa_system_sgpr_workgroup_id_y 0
		.amdhsa_system_sgpr_workgroup_id_z 0
		.amdhsa_system_sgpr_workgroup_info 0
		.amdhsa_system_vgpr_workitem_id 0
		.amdhsa_next_free_vgpr 24
		.amdhsa_next_free_sgpr 44
		.amdhsa_named_barrier_count 0
		.amdhsa_reserve_vcc 1
		.amdhsa_float_round_mode_32 0
		.amdhsa_float_round_mode_16_64 0
		.amdhsa_float_denorm_mode_32 3
		.amdhsa_float_denorm_mode_16_64 3
		.amdhsa_fp16_overflow 0
		.amdhsa_memory_ordered 1
		.amdhsa_forward_progress 1
		.amdhsa_inst_pref_size 18
		.amdhsa_round_robin_scheduling 0
		.amdhsa_exception_fp_ieee_invalid_op 0
		.amdhsa_exception_fp_denorm_src 0
		.amdhsa_exception_fp_ieee_div_zero 0
		.amdhsa_exception_fp_ieee_overflow 0
		.amdhsa_exception_fp_ieee_underflow 0
		.amdhsa_exception_fp_ieee_inexact 0
		.amdhsa_exception_int_div_zero 0
	.end_amdhsa_kernel
	.section	.text._ZN9rocsparseL45csrgemm_symbolic_fill_block_per_row_multipassILj512ELj16ELj2048ELj64EiiEEvT4_PKS1_S3_PKT3_S3_S6_S3_S6_S3_S6_PS1_PS4_21rocsparse_index_base_S9_S9_S9_bb,"axG",@progbits,_ZN9rocsparseL45csrgemm_symbolic_fill_block_per_row_multipassILj512ELj16ELj2048ELj64EiiEEvT4_PKS1_S3_PKT3_S3_S6_S3_S6_S3_S6_PS1_PS4_21rocsparse_index_base_S9_S9_S9_bb,comdat
.Lfunc_end23:
	.size	_ZN9rocsparseL45csrgemm_symbolic_fill_block_per_row_multipassILj512ELj16ELj2048ELj64EiiEEvT4_PKS1_S3_PKT3_S3_S6_S3_S6_S3_S6_PS1_PS4_21rocsparse_index_base_S9_S9_S9_bb, .Lfunc_end23-_ZN9rocsparseL45csrgemm_symbolic_fill_block_per_row_multipassILj512ELj16ELj2048ELj64EiiEEvT4_PKS1_S3_PKT3_S3_S6_S3_S6_S3_S6_PS1_PS4_21rocsparse_index_base_S9_S9_S9_bb
                                        ; -- End function
	.set _ZN9rocsparseL45csrgemm_symbolic_fill_block_per_row_multipassILj512ELj16ELj2048ELj64EiiEEvT4_PKS1_S3_PKT3_S3_S6_S3_S6_S3_S6_PS1_PS4_21rocsparse_index_base_S9_S9_S9_bb.num_vgpr, 24
	.set _ZN9rocsparseL45csrgemm_symbolic_fill_block_per_row_multipassILj512ELj16ELj2048ELj64EiiEEvT4_PKS1_S3_PKT3_S3_S6_S3_S6_S3_S6_PS1_PS4_21rocsparse_index_base_S9_S9_S9_bb.num_agpr, 0
	.set _ZN9rocsparseL45csrgemm_symbolic_fill_block_per_row_multipassILj512ELj16ELj2048ELj64EiiEEvT4_PKS1_S3_PKT3_S3_S6_S3_S6_S3_S6_PS1_PS4_21rocsparse_index_base_S9_S9_S9_bb.numbered_sgpr, 44
	.set _ZN9rocsparseL45csrgemm_symbolic_fill_block_per_row_multipassILj512ELj16ELj2048ELj64EiiEEvT4_PKS1_S3_PKT3_S3_S6_S3_S6_S3_S6_PS1_PS4_21rocsparse_index_base_S9_S9_S9_bb.num_named_barrier, 0
	.set _ZN9rocsparseL45csrgemm_symbolic_fill_block_per_row_multipassILj512ELj16ELj2048ELj64EiiEEvT4_PKS1_S3_PKT3_S3_S6_S3_S6_S3_S6_PS1_PS4_21rocsparse_index_base_S9_S9_S9_bb.private_seg_size, 0
	.set _ZN9rocsparseL45csrgemm_symbolic_fill_block_per_row_multipassILj512ELj16ELj2048ELj64EiiEEvT4_PKS1_S3_PKT3_S3_S6_S3_S6_S3_S6_PS1_PS4_21rocsparse_index_base_S9_S9_S9_bb.uses_vcc, 1
	.set _ZN9rocsparseL45csrgemm_symbolic_fill_block_per_row_multipassILj512ELj16ELj2048ELj64EiiEEvT4_PKS1_S3_PKT3_S3_S6_S3_S6_S3_S6_PS1_PS4_21rocsparse_index_base_S9_S9_S9_bb.uses_flat_scratch, 0
	.set _ZN9rocsparseL45csrgemm_symbolic_fill_block_per_row_multipassILj512ELj16ELj2048ELj64EiiEEvT4_PKS1_S3_PKT3_S3_S6_S3_S6_S3_S6_PS1_PS4_21rocsparse_index_base_S9_S9_S9_bb.has_dyn_sized_stack, 0
	.set _ZN9rocsparseL45csrgemm_symbolic_fill_block_per_row_multipassILj512ELj16ELj2048ELj64EiiEEvT4_PKS1_S3_PKT3_S3_S6_S3_S6_S3_S6_PS1_PS4_21rocsparse_index_base_S9_S9_S9_bb.has_recursion, 0
	.set _ZN9rocsparseL45csrgemm_symbolic_fill_block_per_row_multipassILj512ELj16ELj2048ELj64EiiEEvT4_PKS1_S3_PKT3_S3_S6_S3_S6_S3_S6_PS1_PS4_21rocsparse_index_base_S9_S9_S9_bb.has_indirect_call, 0
	.section	.AMDGPU.csdata,"",@progbits
; Kernel info:
; codeLenInByte = 2192
; TotalNumSgprs: 46
; NumVgprs: 24
; ScratchSize: 0
; MemoryBound: 0
; FloatMode: 240
; IeeeMode: 1
; LDSByteSize: 10244 bytes/workgroup (compile time only)
; SGPRBlocks: 0
; VGPRBlocks: 1
; NumSGPRsForWavesPerEU: 46
; NumVGPRsForWavesPerEU: 24
; NamedBarCnt: 0
; Occupancy: 16
; WaveLimiterHint : 1
; COMPUTE_PGM_RSRC2:SCRATCH_EN: 0
; COMPUTE_PGM_RSRC2:USER_SGPR: 2
; COMPUTE_PGM_RSRC2:TRAP_HANDLER: 0
; COMPUTE_PGM_RSRC2:TGID_X_EN: 1
; COMPUTE_PGM_RSRC2:TGID_Y_EN: 0
; COMPUTE_PGM_RSRC2:TGID_Z_EN: 0
; COMPUTE_PGM_RSRC2:TIDIG_COMP_CNT: 0
	.section	.text._ZN9rocsparseL34csrgemm_symbolic_max_row_nnz_part1ILj256EliEEvT1_PKT0_PS1_,"axG",@progbits,_ZN9rocsparseL34csrgemm_symbolic_max_row_nnz_part1ILj256EliEEvT1_PKT0_PS1_,comdat
	.globl	_ZN9rocsparseL34csrgemm_symbolic_max_row_nnz_part1ILj256EliEEvT1_PKT0_PS1_ ; -- Begin function _ZN9rocsparseL34csrgemm_symbolic_max_row_nnz_part1ILj256EliEEvT1_PKT0_PS1_
	.p2align	8
	.type	_ZN9rocsparseL34csrgemm_symbolic_max_row_nnz_part1ILj256EliEEvT1_PKT0_PS1_,@function
_ZN9rocsparseL34csrgemm_symbolic_max_row_nnz_part1ILj256EliEEvT1_PKT0_PS1_: ; @_ZN9rocsparseL34csrgemm_symbolic_max_row_nnz_part1ILj256EliEEvT1_PKT0_PS1_
; %bb.0:
	s_clause 0x1
	s_load_b32 s7, s[0:1], 0x0
	s_load_b64 s[2:3], s[0:1], 0x10
	s_bfe_u32 s4, ttmp6, 0x4000c
	s_and_b32 s5, ttmp6, 15
	s_add_co_i32 s4, s4, 1
	s_getreg_b32 s6, hwreg(HW_REG_IB_STS2, 6, 4)
	s_mul_i32 s4, ttmp9, s4
	v_mov_b32_e32 v4, 0
	s_add_co_i32 s5, s5, s4
	s_cmp_eq_u32 s6, 0
	s_mov_b32 s9, 0
	s_cselect_b32 s6, ttmp9, s5
	s_mov_b32 s8, exec_lo
	v_lshl_or_b32 v2, s6, 8, v0
	s_wait_kmcnt 0x0
	s_delay_alu instid0(VALU_DEP_1)
	v_cmpx_gt_i32_e64 s7, v2
	s_cbranch_execz .LBB24_4
; %bb.1:
	s_clause 0x1
	s_load_b32 s10, s[0:1], 0x18
	s_load_b64 s[4:5], s[0:1], 0x8
	v_mov_b32_e32 v4, 0
	s_wait_kmcnt 0x0
	s_lshl_b32 s0, s10, 8
.LBB24_2:                               ; =>This Inner Loop Header: Depth=1
	v_ashrrev_i32_e32 v3, 31, v2
	s_delay_alu instid0(VALU_DEP_1)
	v_lshl_add_u64 v[6:7], v[2:3], 3, s[4:5]
	v_add_nc_u32_e32 v2, s0, v2
	global_load_b128 v[6:9], v[6:7], off
	v_cmp_le_i32_e32 vcc_lo, s7, v2
	s_or_b32 s9, vcc_lo, s9
	s_wait_loadcnt 0x0
	v_sub_nc_u32_e32 v1, v8, v6
	s_delay_alu instid0(VALU_DEP_1)
	v_max_i32_e32 v4, v4, v1
	s_and_not1_b32 exec_lo, exec_lo, s9
	s_cbranch_execnz .LBB24_2
; %bb.3:
	s_or_b32 exec_lo, exec_lo, s9
.LBB24_4:
	s_delay_alu instid0(SALU_CYCLE_1)
	s_or_b32 exec_lo, exec_lo, s8
	v_lshlrev_b32_e32 v1, 2, v0
	s_mov_b32 s0, exec_lo
	ds_store_b32 v1, v4
	s_wait_dscnt 0x0
	s_barrier_signal -1
	s_barrier_wait -1
	v_cmpx_gt_u32_e32 0x80, v0
	s_cbranch_execz .LBB24_6
; %bb.5:
	ds_load_2addr_stride64_b32 v[2:3], v1 offset1:2
	s_wait_dscnt 0x0
	v_max_i32_e32 v2, v2, v3
	ds_store_b32 v1, v2
.LBB24_6:
	s_or_b32 exec_lo, exec_lo, s0
	s_delay_alu instid0(SALU_CYCLE_1)
	s_mov_b32 s0, exec_lo
	s_wait_dscnt 0x0
	s_barrier_signal -1
	s_barrier_wait -1
	v_cmpx_gt_u32_e32 64, v0
	s_cbranch_execz .LBB24_8
; %bb.7:
	ds_load_2addr_stride64_b32 v[2:3], v1 offset1:1
	s_wait_dscnt 0x0
	v_max_i32_e32 v2, v2, v3
	ds_store_b32 v1, v2
.LBB24_8:
	s_or_b32 exec_lo, exec_lo, s0
	s_delay_alu instid0(SALU_CYCLE_1)
	s_mov_b32 s0, exec_lo
	s_wait_dscnt 0x0
	s_barrier_signal -1
	s_barrier_wait -1
	v_cmpx_gt_u32_e32 32, v0
	s_cbranch_execz .LBB24_10
; %bb.9:
	ds_load_2addr_b32 v[2:3], v1 offset1:32
	s_wait_dscnt 0x0
	v_max_i32_e32 v2, v2, v3
	ds_store_b32 v1, v2
.LBB24_10:
	s_or_b32 exec_lo, exec_lo, s0
	s_delay_alu instid0(SALU_CYCLE_1)
	s_mov_b32 s0, exec_lo
	s_wait_dscnt 0x0
	s_barrier_signal -1
	s_barrier_wait -1
	v_cmpx_gt_u32_e32 16, v0
	s_cbranch_execz .LBB24_12
; %bb.11:
	ds_load_2addr_b32 v[2:3], v1 offset1:16
	s_wait_dscnt 0x0
	v_max_i32_e32 v2, v2, v3
	ds_store_b32 v1, v2
.LBB24_12:
	;; [unrolled: 14-line block ×5, first 2 shown]
	s_or_b32 exec_lo, exec_lo, s0
	v_cmp_eq_u32_e32 vcc_lo, 0, v0
	s_wait_dscnt 0x0
	s_barrier_signal -1
	s_barrier_wait -1
	s_and_saveexec_b32 s0, vcc_lo
	s_cbranch_execz .LBB24_20
; %bb.19:
	v_mov_b32_e32 v2, 0
	ds_load_b64 v[0:1], v2
	s_wait_dscnt 0x0
	v_max_i32_e32 v0, v0, v1
	ds_store_b32 v2, v0
.LBB24_20:
	s_or_b32 exec_lo, exec_lo, s0
	s_wait_dscnt 0x0
	s_barrier_signal -1
	s_barrier_wait -1
	s_and_saveexec_b32 s0, vcc_lo
	s_cbranch_execz .LBB24_22
; %bb.21:
	v_dual_mov_b32 v0, 0 :: v_dual_mov_b32 v1, s6
	ds_load_b32 v0, v0
	s_wait_dscnt 0x0
	global_store_b32 v1, v0, s[2:3] scale_offset
.LBB24_22:
	s_endpgm
	.section	.rodata,"a",@progbits
	.p2align	6, 0x0
	.amdhsa_kernel _ZN9rocsparseL34csrgemm_symbolic_max_row_nnz_part1ILj256EliEEvT1_PKT0_PS1_
		.amdhsa_group_segment_fixed_size 1024
		.amdhsa_private_segment_fixed_size 0
		.amdhsa_kernarg_size 280
		.amdhsa_user_sgpr_count 2
		.amdhsa_user_sgpr_dispatch_ptr 0
		.amdhsa_user_sgpr_queue_ptr 0
		.amdhsa_user_sgpr_kernarg_segment_ptr 1
		.amdhsa_user_sgpr_dispatch_id 0
		.amdhsa_user_sgpr_kernarg_preload_length 0
		.amdhsa_user_sgpr_kernarg_preload_offset 0
		.amdhsa_user_sgpr_private_segment_size 0
		.amdhsa_wavefront_size32 1
		.amdhsa_uses_dynamic_stack 0
		.amdhsa_enable_private_segment 0
		.amdhsa_system_sgpr_workgroup_id_x 1
		.amdhsa_system_sgpr_workgroup_id_y 0
		.amdhsa_system_sgpr_workgroup_id_z 0
		.amdhsa_system_sgpr_workgroup_info 0
		.amdhsa_system_vgpr_workitem_id 0
		.amdhsa_next_free_vgpr 10
		.amdhsa_next_free_sgpr 11
		.amdhsa_named_barrier_count 0
		.amdhsa_reserve_vcc 1
		.amdhsa_float_round_mode_32 0
		.amdhsa_float_round_mode_16_64 0
		.amdhsa_float_denorm_mode_32 3
		.amdhsa_float_denorm_mode_16_64 3
		.amdhsa_fp16_overflow 0
		.amdhsa_memory_ordered 1
		.amdhsa_forward_progress 1
		.amdhsa_inst_pref_size 6
		.amdhsa_round_robin_scheduling 0
		.amdhsa_exception_fp_ieee_invalid_op 0
		.amdhsa_exception_fp_denorm_src 0
		.amdhsa_exception_fp_ieee_div_zero 0
		.amdhsa_exception_fp_ieee_overflow 0
		.amdhsa_exception_fp_ieee_underflow 0
		.amdhsa_exception_fp_ieee_inexact 0
		.amdhsa_exception_int_div_zero 0
	.end_amdhsa_kernel
	.section	.text._ZN9rocsparseL34csrgemm_symbolic_max_row_nnz_part1ILj256EliEEvT1_PKT0_PS1_,"axG",@progbits,_ZN9rocsparseL34csrgemm_symbolic_max_row_nnz_part1ILj256EliEEvT1_PKT0_PS1_,comdat
.Lfunc_end24:
	.size	_ZN9rocsparseL34csrgemm_symbolic_max_row_nnz_part1ILj256EliEEvT1_PKT0_PS1_, .Lfunc_end24-_ZN9rocsparseL34csrgemm_symbolic_max_row_nnz_part1ILj256EliEEvT1_PKT0_PS1_
                                        ; -- End function
	.set _ZN9rocsparseL34csrgemm_symbolic_max_row_nnz_part1ILj256EliEEvT1_PKT0_PS1_.num_vgpr, 10
	.set _ZN9rocsparseL34csrgemm_symbolic_max_row_nnz_part1ILj256EliEEvT1_PKT0_PS1_.num_agpr, 0
	.set _ZN9rocsparseL34csrgemm_symbolic_max_row_nnz_part1ILj256EliEEvT1_PKT0_PS1_.numbered_sgpr, 11
	.set _ZN9rocsparseL34csrgemm_symbolic_max_row_nnz_part1ILj256EliEEvT1_PKT0_PS1_.num_named_barrier, 0
	.set _ZN9rocsparseL34csrgemm_symbolic_max_row_nnz_part1ILj256EliEEvT1_PKT0_PS1_.private_seg_size, 0
	.set _ZN9rocsparseL34csrgemm_symbolic_max_row_nnz_part1ILj256EliEEvT1_PKT0_PS1_.uses_vcc, 1
	.set _ZN9rocsparseL34csrgemm_symbolic_max_row_nnz_part1ILj256EliEEvT1_PKT0_PS1_.uses_flat_scratch, 0
	.set _ZN9rocsparseL34csrgemm_symbolic_max_row_nnz_part1ILj256EliEEvT1_PKT0_PS1_.has_dyn_sized_stack, 0
	.set _ZN9rocsparseL34csrgemm_symbolic_max_row_nnz_part1ILj256EliEEvT1_PKT0_PS1_.has_recursion, 0
	.set _ZN9rocsparseL34csrgemm_symbolic_max_row_nnz_part1ILj256EliEEvT1_PKT0_PS1_.has_indirect_call, 0
	.section	.AMDGPU.csdata,"",@progbits
; Kernel info:
; codeLenInByte = 720
; TotalNumSgprs: 13
; NumVgprs: 10
; ScratchSize: 0
; MemoryBound: 0
; FloatMode: 240
; IeeeMode: 1
; LDSByteSize: 1024 bytes/workgroup (compile time only)
; SGPRBlocks: 0
; VGPRBlocks: 0
; NumSGPRsForWavesPerEU: 13
; NumVGPRsForWavesPerEU: 10
; NamedBarCnt: 0
; Occupancy: 16
; WaveLimiterHint : 0
; COMPUTE_PGM_RSRC2:SCRATCH_EN: 0
; COMPUTE_PGM_RSRC2:USER_SGPR: 2
; COMPUTE_PGM_RSRC2:TRAP_HANDLER: 0
; COMPUTE_PGM_RSRC2:TGID_X_EN: 1
; COMPUTE_PGM_RSRC2:TGID_Y_EN: 0
; COMPUTE_PGM_RSRC2:TGID_Z_EN: 0
; COMPUTE_PGM_RSRC2:TIDIG_COMP_CNT: 0
	.section	.text._ZN9rocsparseL35csrgemm_symbolic_group_reduce_part2ILj256ELj11EliEEvT2_PKT1_PS1_Pij,"axG",@progbits,_ZN9rocsparseL35csrgemm_symbolic_group_reduce_part2ILj256ELj11EliEEvT2_PKT1_PS1_Pij,comdat
	.globl	_ZN9rocsparseL35csrgemm_symbolic_group_reduce_part2ILj256ELj11EliEEvT2_PKT1_PS1_Pij ; -- Begin function _ZN9rocsparseL35csrgemm_symbolic_group_reduce_part2ILj256ELj11EliEEvT2_PKT1_PS1_Pij
	.p2align	8
	.type	_ZN9rocsparseL35csrgemm_symbolic_group_reduce_part2ILj256ELj11EliEEvT2_PKT1_PS1_Pij,@function
_ZN9rocsparseL35csrgemm_symbolic_group_reduce_part2ILj256ELj11EliEEvT2_PKT1_PS1_Pij: ; @_ZN9rocsparseL35csrgemm_symbolic_group_reduce_part2ILj256ELj11EliEEvT2_PKT1_PS1_Pij
; %bb.0:
	s_bfe_u32 s2, ttmp6, 0x4000c
	s_load_b32 s10, s[0:1], 0x0
	s_add_co_i32 s5, s2, 1
	s_load_b64 s[2:3], s[0:1], 0x10
	s_and_b32 s4, ttmp6, 15
	s_mul_i32 s5, ttmp9, s5
	s_getreg_b32 s6, hwreg(HW_REG_IB_STS2, 6, 4)
	s_add_co_i32 s4, s4, s5
	s_cmp_eq_u32 s6, 0
	v_mov_b32_e32 v6, 0
	s_cselect_b32 s7, ttmp9, s4
	v_mul_u32_u24_e32 v1, 44, v0
	v_lshl_or_b32 v2, s7, 8, v0
	s_mov_b32 s11, 0
	s_mov_b32 s12, exec_lo
	ds_store_2addr_b32 v1, v6, v6 offset1:1
	ds_store_2addr_b32 v1, v6, v6 offset0:2 offset1:3
	ds_store_2addr_b32 v1, v6, v6 offset0:4 offset1:5
	ds_store_2addr_b32 v1, v6, v6 offset0:6 offset1:7
	ds_store_2addr_b32 v1, v6, v6 offset0:8 offset1:9
	ds_store_b32 v1, v6 offset:40
	s_wait_dscnt 0x0
	s_wait_kmcnt 0x0
	v_cmpx_gt_i32_e64 s10, v2
	s_cbranch_execz .LBB25_43
; %bb.1:
	s_clause 0x2
	s_load_b96 s[4:6], s[0:1], 0x18
	s_load_b32 s13, s[0:1], 0x28
	s_load_b64 s[8:9], s[0:1], 0x8
	v_dual_mov_b32 v7, 6 :: v_dual_mov_b32 v8, 7
	v_dual_mov_b32 v9, 8 :: v_dual_mov_b32 v10, 9
	;; [unrolled: 1-line block ×5, first 2 shown]
	s_wait_kmcnt 0x0
	s_cmp_lt_u32 s6, 0x4084
	s_cselect_b32 s1, -1, 0
	s_cmp_lt_u32 s6, 0x8084
	s_cselect_b32 s14, -1, 0
	;; [unrolled: 2-line block ×4, first 2 shown]
	s_lshl_b32 s0, s13, 8
	s_xor_b32 s1, s1, -1
	s_xor_b32 s6, s14, -1
	;; [unrolled: 1-line block ×4, first 2 shown]
	s_branch .LBB25_3
.LBB25_2:                               ;   in Loop: Header=BB25_3 Depth=1
	s_wait_xcnt 0x0
	s_or_b32 exec_lo, exec_lo, s15
	v_add_nc_u32_e32 v2, s0, v2
	s_delay_alu instid0(VALU_DEP_1) | instskip(SKIP_1) | instid1(SALU_CYCLE_1)
	v_cmp_le_i32_e32 vcc_lo, s10, v2
	s_or_b32 s11, vcc_lo, s11
	s_and_not1_b32 exec_lo, exec_lo, s11
	s_cbranch_execz .LBB25_43
.LBB25_3:                               ; =>This Inner Loop Header: Depth=1
	v_ashrrev_i32_e32 v3, 31, v2
	s_mov_b32 s15, exec_lo
	s_delay_alu instid0(VALU_DEP_1) | instskip(SKIP_4) | instid1(VALU_DEP_1)
	v_lshl_add_u64 v[4:5], v[2:3], 3, s[8:9]
	global_load_b128 v[18:21], v[4:5], off
	s_wait_loadcnt 0x0
	s_wait_xcnt 0x0
	v_sub_nc_u64_e32 v[4:5], v[20:21], v[18:19]
	v_cmpx_lt_i64_e32 16, v[4:5]
	s_xor_b32 s15, exec_lo, s15
	s_cbranch_execz .LBB25_41
; %bb.4:                                ;   in Loop: Header=BB25_3 Depth=1
	s_mov_b32 s16, exec_lo
	v_cmpx_lt_u64_e32 32, v[4:5]
	s_xor_b32 s16, exec_lo, s16
	s_cbranch_execz .LBB25_38
; %bb.5:                                ;   in Loop: Header=BB25_3 Depth=1
	s_mov_b32 s17, exec_lo
	v_cmpx_lt_u64_e32 0x100, v[4:5]
	;; [unrolled: 5-line block ×5, first 2 shown]
	s_xor_b32 s20, exec_lo, s20
	s_cbranch_execz .LBB25_26
; %bb.9:                                ;   in Loop: Header=BB25_3 Depth=1
	v_cmp_gt_u64_e32 vcc_lo, 0x1001, v[4:5]
	s_and_b32 s21, s1, vcc_lo
	s_delay_alu instid0(SALU_CYCLE_1) | instskip(NEXT) | instid1(SALU_CYCLE_1)
	s_and_saveexec_b32 s22, s21
	s_xor_b32 s21, exec_lo, s22
	s_cbranch_execz .LBB25_11
; %bb.10:                               ;   in Loop: Header=BB25_3 Depth=1
	ds_load_b32 v4, v1 offset:24
	s_wait_dscnt 0x0
	v_add_nc_u32_e32 v17, 1, v4
	v_lshl_add_u64 v[4:5], v[2:3], 2, s[4:5]
	ds_store_b32 v1, v17 offset:24
	global_store_b32 v[4:5], v7, off
                                        ; implicit-def: $vgpr4_vgpr5
.LBB25_11:                              ;   in Loop: Header=BB25_3 Depth=1
	s_wait_xcnt 0x0
	s_and_not1_saveexec_b32 s21, s21
	s_cbranch_execz .LBB25_25
; %bb.12:                               ;   in Loop: Header=BB25_3 Depth=1
	v_cmp_gt_u64_e32 vcc_lo, 0x2001, v[4:5]
	s_and_b32 s22, s6, vcc_lo
	s_delay_alu instid0(SALU_CYCLE_1) | instskip(NEXT) | instid1(SALU_CYCLE_1)
	s_and_saveexec_b32 s23, s22
	s_xor_b32 s22, exec_lo, s23
	s_cbranch_execz .LBB25_14
; %bb.13:                               ;   in Loop: Header=BB25_3 Depth=1
	ds_load_b32 v4, v1 offset:28
	s_wait_dscnt 0x0
	v_add_nc_u32_e32 v17, 1, v4
	v_lshl_add_u64 v[4:5], v[2:3], 2, s[4:5]
	ds_store_b32 v1, v17 offset:28
	global_store_b32 v[4:5], v8, off
                                        ; implicit-def: $vgpr4_vgpr5
.LBB25_14:                              ;   in Loop: Header=BB25_3 Depth=1
	s_wait_xcnt 0x0
	s_and_not1_saveexec_b32 s22, s22
	s_cbranch_execz .LBB25_24
; %bb.15:                               ;   in Loop: Header=BB25_3 Depth=1
	;; [unrolled: 19-line block ×3, first 2 shown]
	v_cmp_gt_u64_e32 vcc_lo, 0x8001, v[4:5]
	v_lshl_add_u64 v[4:5], v[2:3], 2, s[4:5]
	s_and_b32 s24, s14, vcc_lo
	s_delay_alu instid0(SALU_CYCLE_1) | instskip(NEXT) | instid1(SALU_CYCLE_1)
	s_and_saveexec_b32 s25, s24
	s_xor_b32 s24, exec_lo, s25
	s_cbranch_execz .LBB25_20
; %bb.19:                               ;   in Loop: Header=BB25_3 Depth=1
	ds_load_b32 v17, v1 offset:36
	global_store_b32 v[4:5], v10, off
                                        ; implicit-def: $vgpr4_vgpr5
	s_wait_dscnt 0x0
	v_add_nc_u32_e32 v17, 1, v17
	ds_store_b32 v1, v17 offset:36
.LBB25_20:                              ;   in Loop: Header=BB25_3 Depth=1
	s_wait_xcnt 0x0
	s_and_not1_saveexec_b32 s24, s24
	s_cbranch_execz .LBB25_22
; %bb.21:                               ;   in Loop: Header=BB25_3 Depth=1
	ds_load_b32 v17, v1 offset:40
	global_store_b32 v[4:5], v11, off
	s_wait_dscnt 0x0
	v_add_nc_u32_e32 v17, 1, v17
	ds_store_b32 v1, v17 offset:40
.LBB25_22:                              ;   in Loop: Header=BB25_3 Depth=1
	s_wait_xcnt 0x0
	s_or_b32 exec_lo, exec_lo, s24
.LBB25_23:                              ;   in Loop: Header=BB25_3 Depth=1
	s_delay_alu instid0(SALU_CYCLE_1)
	s_or_b32 exec_lo, exec_lo, s23
.LBB25_24:                              ;   in Loop: Header=BB25_3 Depth=1
	s_delay_alu instid0(SALU_CYCLE_1)
	s_or_b32 exec_lo, exec_lo, s22
.LBB25_25:                              ;   in Loop: Header=BB25_3 Depth=1
	s_delay_alu instid0(SALU_CYCLE_1)
	s_or_b32 exec_lo, exec_lo, s21
.LBB25_26:                              ;   in Loop: Header=BB25_3 Depth=1
	s_and_not1_saveexec_b32 s20, s20
	s_cbranch_execz .LBB25_28
; %bb.27:                               ;   in Loop: Header=BB25_3 Depth=1
	ds_load_b32 v4, v1 offset:20
	s_wait_dscnt 0x0
	v_add_nc_u32_e32 v17, 1, v4
	v_lshl_add_u64 v[4:5], v[2:3], 2, s[4:5]
	ds_store_b32 v1, v17 offset:20
	global_store_b32 v[4:5], v12, off
.LBB25_28:                              ;   in Loop: Header=BB25_3 Depth=1
	s_wait_xcnt 0x0
	s_or_b32 exec_lo, exec_lo, s20
.LBB25_29:                              ;   in Loop: Header=BB25_3 Depth=1
	s_and_not1_saveexec_b32 s19, s19
	s_cbranch_execz .LBB25_31
; %bb.30:                               ;   in Loop: Header=BB25_3 Depth=1
	ds_load_b32 v4, v1 offset:16
	s_wait_dscnt 0x0
	v_add_nc_u32_e32 v17, 1, v4
	v_lshl_add_u64 v[4:5], v[2:3], 2, s[4:5]
	ds_store_b32 v1, v17 offset:16
	global_store_b32 v[4:5], v13, off
.LBB25_31:                              ;   in Loop: Header=BB25_3 Depth=1
	s_wait_xcnt 0x0
	s_or_b32 exec_lo, exec_lo, s19
.LBB25_32:                              ;   in Loop: Header=BB25_3 Depth=1
	s_and_not1_saveexec_b32 s18, s18
	s_cbranch_execz .LBB25_34
; %bb.33:                               ;   in Loop: Header=BB25_3 Depth=1
	ds_load_b32 v4, v1 offset:12
	s_wait_dscnt 0x0
	v_add_nc_u32_e32 v17, 1, v4
	v_lshl_add_u64 v[4:5], v[2:3], 2, s[4:5]
	ds_store_b32 v1, v17 offset:12
	global_store_b32 v[4:5], v14, off
.LBB25_34:                              ;   in Loop: Header=BB25_3 Depth=1
	s_wait_xcnt 0x0
	s_or_b32 exec_lo, exec_lo, s18
.LBB25_35:                              ;   in Loop: Header=BB25_3 Depth=1
	s_and_not1_saveexec_b32 s17, s17
	s_cbranch_execz .LBB25_37
; %bb.36:                               ;   in Loop: Header=BB25_3 Depth=1
	ds_load_b32 v4, v1 offset:8
	s_wait_dscnt 0x0
	v_add_nc_u32_e32 v17, 1, v4
	v_lshl_add_u64 v[4:5], v[2:3], 2, s[4:5]
	ds_store_b32 v1, v17 offset:8
	global_store_b32 v[4:5], v15, off
.LBB25_37:                              ;   in Loop: Header=BB25_3 Depth=1
	s_wait_xcnt 0x0
	s_or_b32 exec_lo, exec_lo, s17
.LBB25_38:                              ;   in Loop: Header=BB25_3 Depth=1
	s_and_not1_saveexec_b32 s16, s16
	s_cbranch_execz .LBB25_40
; %bb.39:                               ;   in Loop: Header=BB25_3 Depth=1
	ds_load_b32 v4, v1 offset:4
	s_wait_dscnt 0x0
	v_add_nc_u32_e32 v17, 1, v4
	v_lshl_add_u64 v[4:5], v[2:3], 2, s[4:5]
	ds_store_b32 v1, v17 offset:4
	global_store_b32 v[4:5], v16, off
.LBB25_40:                              ;   in Loop: Header=BB25_3 Depth=1
	s_wait_xcnt 0x0
	s_or_b32 exec_lo, exec_lo, s16
.LBB25_41:                              ;   in Loop: Header=BB25_3 Depth=1
	s_and_not1_saveexec_b32 s15, s15
	s_cbranch_execz .LBB25_2
; %bb.42:                               ;   in Loop: Header=BB25_3 Depth=1
	ds_load_b32 v4, v1
	s_wait_dscnt 0x0
	v_add_nc_u32_e32 v17, 1, v4
	v_lshl_add_u64 v[4:5], v[2:3], 2, s[4:5]
	ds_store_b32 v1, v17
	global_store_b32 v[4:5], v6, off
	s_branch .LBB25_2
.LBB25_43:
	s_or_b32 exec_lo, exec_lo, s12
	s_delay_alu instid0(SALU_CYCLE_1)
	s_mov_b32 s0, exec_lo
	s_wait_storecnt_dscnt 0x0
	s_barrier_signal -1
	s_barrier_wait -1
	s_barrier_signal -1
	s_barrier_wait -1
	;; [unrolled: 2-line block ×3, first 2 shown]
	v_cmpx_gt_u32_e32 0x80, v0
	s_cbranch_execz .LBB25_45
; %bb.44:
	v_add_nc_u32_e32 v4, 0x1600, v1
	v_add_nc_u32_e32 v6, 0x1608, v1
	;; [unrolled: 1-line block ×4, first 2 shown]
	ds_load_2addr_b32 v[2:3], v1 offset1:1
	ds_load_2addr_b32 v[4:5], v4 offset1:1
	;; [unrolled: 1-line block ×4, first 2 shown]
	v_add_nc_u32_e32 v18, 0x1620, v1
	ds_load_2addr_b32 v[10:11], v1 offset0:2 offset1:3
	ds_load_2addr_b32 v[12:13], v1 offset0:4 offset1:5
	;; [unrolled: 1-line block ×3, first 2 shown]
	s_wait_dscnt 0x5
	v_dual_add_nc_u32 v22, 40, v1 :: v_dual_add_nc_u32 v2, v2, v4
	ds_load_2addr_b32 v[16:17], v16 offset1:1
	ds_load_2addr_b32 v[18:19], v18 offset1:1
	ds_load_2addr_b32 v[20:21], v1 offset0:8 offset1:9
	ds_load_2addr_stride64_b32 v[22:23], v22 offset1:22
	s_wait_dscnt 0x6
	v_dual_add_nc_u32 v3, v3, v5 :: v_dual_add_nc_u32 v5, v10, v6
	s_wait_dscnt 0x5
	v_dual_add_nc_u32 v4, v11, v7 :: v_dual_add_nc_u32 v6, v13, v9
	;; [unrolled: 2-line block ×5, first 2 shown]
	ds_store_2addr_b32 v1, v2, v3 offset1:1
	ds_store_2addr_b32 v1, v5, v4 offset0:2 offset1:3
	ds_store_2addr_b32 v1, v7, v6 offset0:4 offset1:5
	;; [unrolled: 1-line block ×4, first 2 shown]
	ds_store_b32 v1, v12 offset:40
.LBB25_45:
	s_or_b32 exec_lo, exec_lo, s0
	s_delay_alu instid0(SALU_CYCLE_1)
	s_mov_b32 s0, exec_lo
	s_wait_dscnt 0x0
	s_barrier_signal -1
	s_barrier_wait -1
	v_cmpx_gt_u32_e32 64, v0
	s_cbranch_execz .LBB25_47
; %bb.46:
	v_add_nc_u32_e32 v4, 0xb00, v1
	v_add_nc_u32_e32 v6, 0xb08, v1
	v_add_nc_u32_e32 v8, 0xb10, v1
	v_add_nc_u32_e32 v16, 0xb18, v1
	ds_load_2addr_b32 v[2:3], v1 offset1:1
	ds_load_2addr_b32 v[4:5], v4 offset1:1
	;; [unrolled: 1-line block ×4, first 2 shown]
	v_add_nc_u32_e32 v18, 0xb20, v1
	ds_load_2addr_b32 v[10:11], v1 offset0:2 offset1:3
	ds_load_2addr_b32 v[12:13], v1 offset0:4 offset1:5
	;; [unrolled: 1-line block ×3, first 2 shown]
	s_wait_dscnt 0x5
	v_dual_add_nc_u32 v22, 40, v1 :: v_dual_add_nc_u32 v2, v2, v4
	ds_load_2addr_b32 v[16:17], v16 offset1:1
	ds_load_2addr_b32 v[18:19], v18 offset1:1
	ds_load_2addr_b32 v[20:21], v1 offset0:8 offset1:9
	ds_load_2addr_stride64_b32 v[22:23], v22 offset1:11
	s_wait_dscnt 0x6
	v_dual_add_nc_u32 v3, v3, v5 :: v_dual_add_nc_u32 v5, v10, v6
	s_wait_dscnt 0x5
	v_dual_add_nc_u32 v4, v11, v7 :: v_dual_add_nc_u32 v6, v13, v9
	;; [unrolled: 2-line block ×5, first 2 shown]
	ds_store_2addr_b32 v1, v2, v3 offset1:1
	ds_store_2addr_b32 v1, v5, v4 offset0:2 offset1:3
	ds_store_2addr_b32 v1, v7, v6 offset0:4 offset1:5
	ds_store_2addr_b32 v1, v9, v8 offset0:6 offset1:7
	ds_store_2addr_b32 v1, v11, v10 offset0:8 offset1:9
	ds_store_b32 v1, v12 offset:40
.LBB25_47:
	s_or_b32 exec_lo, exec_lo, s0
	s_delay_alu instid0(SALU_CYCLE_1)
	s_mov_b32 s0, exec_lo
	s_wait_dscnt 0x0
	s_barrier_signal -1
	s_barrier_wait -1
	v_cmpx_gt_u32_e32 32, v0
	s_cbranch_execz .LBB25_49
; %bb.48:
	v_add_nc_u32_e32 v6, 0x580, v1
	v_add_nc_u32_e32 v8, 0x588, v1
	ds_load_2addr_b32 v[2:3], v1 offset1:1
	ds_load_2addr_b32 v[4:5], v1 offset0:2 offset1:3
	v_add_nc_u32_e32 v10, 0x590, v1
	v_add_nc_u32_e32 v16, 0x598, v1
	ds_load_2addr_b32 v[6:7], v6 offset1:1
	v_add_nc_u32_e32 v18, 0x5a0, v1
	ds_load_2addr_b32 v[8:9], v8 offset1:1
	ds_load_2addr_b32 v[10:11], v10 offset1:1
	ds_load_2addr_b32 v[12:13], v1 offset0:4 offset1:5
	ds_load_2addr_b32 v[14:15], v1 offset0:6 offset1:7
	ds_load_2addr_b32 v[16:17], v16 offset1:1
	ds_load_2addr_b32 v[18:19], v18 offset1:1
	ds_load_2addr_b32 v[20:21], v1 offset0:8 offset1:9
	ds_load_b32 v22, v1 offset:1448
	ds_load_b32 v23, v1 offset:40
	s_wait_dscnt 0x8
	v_dual_add_nc_u32 v5, v5, v9 :: v_dual_add_nc_u32 v4, v4, v8
	s_wait_dscnt 0x4
	v_dual_add_nc_u32 v8, v15, v17 :: v_dual_add_nc_u32 v9, v14, v16
	v_dual_add_nc_u32 v3, v3, v7 :: v_dual_add_nc_u32 v2, v2, v6
	;; [unrolled: 1-line block ×3, first 2 shown]
	s_wait_dscnt 0x2
	v_dual_add_nc_u32 v10, v21, v19 :: v_dual_add_nc_u32 v11, v20, v18
	s_wait_dscnt 0x0
	v_add_nc_u32_e32 v12, v23, v22
	ds_store_2addr_b32 v1, v2, v3 offset1:1
	ds_store_2addr_b32 v1, v4, v5 offset0:2 offset1:3
	ds_store_2addr_b32 v1, v7, v6 offset0:4 offset1:5
	;; [unrolled: 1-line block ×4, first 2 shown]
	ds_store_b32 v1, v12 offset:40
.LBB25_49:
	s_or_b32 exec_lo, exec_lo, s0
	s_delay_alu instid0(SALU_CYCLE_1)
	s_mov_b32 s0, exec_lo
	s_wait_dscnt 0x0
	s_barrier_signal -1
	s_barrier_wait -1
	v_cmpx_gt_u32_e32 16, v0
	s_cbranch_execz .LBB25_51
; %bb.50:
	ds_load_2addr_b32 v[2:3], v1 offset0:176 offset1:177
	ds_load_2addr_b32 v[4:5], v1 offset1:1
	ds_load_2addr_b32 v[6:7], v1 offset0:2 offset1:3
	ds_load_2addr_b32 v[8:9], v1 offset0:178 offset1:179
	ds_load_2addr_b32 v[10:11], v1 offset0:180 offset1:181
	ds_load_2addr_b32 v[12:13], v1 offset0:4 offset1:5
	ds_load_2addr_b32 v[14:15], v1 offset0:6 offset1:7
	ds_load_2addr_b32 v[16:17], v1 offset0:182 offset1:183
	ds_load_2addr_b32 v[18:19], v1 offset0:184 offset1:185
	ds_load_2addr_b32 v[20:21], v1 offset0:8 offset1:9
	ds_load_2addr_b32 v[22:23], v1 offset0:10 offset1:186
	s_wait_dscnt 0x9
	v_dual_add_nc_u32 v3, v5, v3 :: v_dual_add_nc_u32 v2, v4, v2
	s_wait_dscnt 0x7
	v_dual_add_nc_u32 v4, v7, v9 :: v_dual_add_nc_u32 v5, v6, v8
	s_wait_dscnt 0x5
	v_dual_add_nc_u32 v6, v13, v11 :: v_dual_add_nc_u32 v7, v12, v10
	s_wait_dscnt 0x3
	v_dual_add_nc_u32 v8, v15, v17 :: v_dual_add_nc_u32 v9, v14, v16
	s_wait_dscnt 0x1
	v_dual_add_nc_u32 v10, v21, v19 :: v_dual_add_nc_u32 v11, v20, v18
	s_wait_dscnt 0x0
	v_add_nc_u32_e32 v12, v22, v23
	ds_store_2addr_b32 v1, v2, v3 offset1:1
	ds_store_2addr_b32 v1, v5, v4 offset0:2 offset1:3
	ds_store_2addr_b32 v1, v7, v6 offset0:4 offset1:5
	ds_store_2addr_b32 v1, v9, v8 offset0:6 offset1:7
	ds_store_2addr_b32 v1, v11, v10 offset0:8 offset1:9
	ds_store_b32 v1, v12 offset:40
.LBB25_51:
	s_or_b32 exec_lo, exec_lo, s0
	s_delay_alu instid0(SALU_CYCLE_1)
	s_mov_b32 s0, exec_lo
	s_wait_dscnt 0x0
	s_barrier_signal -1
	s_barrier_wait -1
	v_cmpx_gt_u32_e32 8, v0
	s_cbranch_execz .LBB25_53
; %bb.52:
	ds_load_2addr_b32 v[2:3], v1 offset0:88 offset1:89
	ds_load_2addr_b32 v[4:5], v1 offset1:1
	ds_load_2addr_b32 v[6:7], v1 offset0:2 offset1:3
	ds_load_2addr_b32 v[8:9], v1 offset0:90 offset1:91
	ds_load_2addr_b32 v[10:11], v1 offset0:92 offset1:93
	ds_load_2addr_b32 v[12:13], v1 offset0:4 offset1:5
	ds_load_2addr_b32 v[14:15], v1 offset0:6 offset1:7
	ds_load_2addr_b32 v[16:17], v1 offset0:94 offset1:95
	ds_load_2addr_b32 v[18:19], v1 offset0:96 offset1:97
	ds_load_2addr_b32 v[20:21], v1 offset0:8 offset1:9
	ds_load_2addr_b32 v[22:23], v1 offset0:10 offset1:98
	s_wait_dscnt 0x9
	v_dual_add_nc_u32 v3, v5, v3 :: v_dual_add_nc_u32 v2, v4, v2
	s_wait_dscnt 0x7
	v_dual_add_nc_u32 v4, v7, v9 :: v_dual_add_nc_u32 v5, v6, v8
	s_wait_dscnt 0x5
	v_dual_add_nc_u32 v6, v13, v11 :: v_dual_add_nc_u32 v7, v12, v10
	s_wait_dscnt 0x3
	v_dual_add_nc_u32 v8, v15, v17 :: v_dual_add_nc_u32 v9, v14, v16
	s_wait_dscnt 0x1
	v_dual_add_nc_u32 v10, v21, v19 :: v_dual_add_nc_u32 v11, v20, v18
	s_wait_dscnt 0x0
	v_add_nc_u32_e32 v12, v22, v23
	ds_store_2addr_b32 v1, v2, v3 offset1:1
	ds_store_2addr_b32 v1, v5, v4 offset0:2 offset1:3
	ds_store_2addr_b32 v1, v7, v6 offset0:4 offset1:5
	ds_store_2addr_b32 v1, v9, v8 offset0:6 offset1:7
	ds_store_2addr_b32 v1, v11, v10 offset0:8 offset1:9
	ds_store_b32 v1, v12 offset:40
.LBB25_53:
	;; [unrolled: 39-line block ×4, first 2 shown]
	s_or_b32 exec_lo, exec_lo, s0
	s_delay_alu instid0(SALU_CYCLE_1)
	s_mov_b32 s0, exec_lo
	s_wait_dscnt 0x0
	s_barrier_signal -1
	s_barrier_wait -1
	v_cmpx_eq_u32_e32 0, v0
	s_cbranch_execz .LBB25_59
; %bb.58:
	v_mov_b32_e32 v1, 0
	ds_load_2addr_b32 v[14:15], v1 offset0:11 offset1:12
	ds_load_b128 v[2:5], v1
	ds_load_2addr_b32 v[16:17], v1 offset0:13 offset1:14
	ds_load_b128 v[6:9], v1 offset:16
	ds_load_2addr_b32 v[18:19], v1 offset0:15 offset1:16
	ds_load_2addr_b32 v[20:21], v1 offset0:17 offset1:18
	ds_load_b96 v[10:12], v1 offset:32
	ds_load_2addr_b32 v[22:23], v1 offset0:19 offset1:20
	ds_load_b32 v13, v1 offset:84
	s_wait_dscnt 0x7
	v_dual_add_nc_u32 v3, v3, v15 :: v_dual_add_nc_u32 v2, v2, v14
	s_wait_dscnt 0x6
	v_dual_add_nc_u32 v5, v5, v17 :: v_dual_add_nc_u32 v4, v4, v16
	;; [unrolled: 2-line block ×5, first 2 shown]
	s_wait_dscnt 0x0
	v_add_nc_u32_e32 v12, v12, v13
	ds_store_b128 v1, v[2:5]
	ds_store_b128 v1, v[6:9] offset:16
	ds_store_b96 v1, v[10:12] offset:32
.LBB25_59:
	s_or_b32 exec_lo, exec_lo, s0
	s_wait_dscnt 0x0
	s_barrier_signal -1
	s_barrier_wait -1
	s_mov_b32 s0, exec_lo
	v_cmpx_gt_u32_e32 11, v0
	s_cbranch_execz .LBB25_61
; %bb.60:
	v_lshlrev_b32_e32 v1, 2, v0
	v_mad_u32 v0, s7, 11, v0
	ds_load_b32 v1, v1
	s_wait_dscnt 0x0
	global_store_b32 v0, v1, s[2:3] scale_offset
.LBB25_61:
	s_endpgm
	.section	.rodata,"a",@progbits
	.p2align	6, 0x0
	.amdhsa_kernel _ZN9rocsparseL35csrgemm_symbolic_group_reduce_part2ILj256ELj11EliEEvT2_PKT1_PS1_Pij
		.amdhsa_group_segment_fixed_size 11264
		.amdhsa_private_segment_fixed_size 0
		.amdhsa_kernarg_size 296
		.amdhsa_user_sgpr_count 2
		.amdhsa_user_sgpr_dispatch_ptr 0
		.amdhsa_user_sgpr_queue_ptr 0
		.amdhsa_user_sgpr_kernarg_segment_ptr 1
		.amdhsa_user_sgpr_dispatch_id 0
		.amdhsa_user_sgpr_kernarg_preload_length 0
		.amdhsa_user_sgpr_kernarg_preload_offset 0
		.amdhsa_user_sgpr_private_segment_size 0
		.amdhsa_wavefront_size32 1
		.amdhsa_uses_dynamic_stack 0
		.amdhsa_enable_private_segment 0
		.amdhsa_system_sgpr_workgroup_id_x 1
		.amdhsa_system_sgpr_workgroup_id_y 0
		.amdhsa_system_sgpr_workgroup_id_z 0
		.amdhsa_system_sgpr_workgroup_info 0
		.amdhsa_system_vgpr_workitem_id 0
		.amdhsa_next_free_vgpr 24
		.amdhsa_next_free_sgpr 26
		.amdhsa_named_barrier_count 0
		.amdhsa_reserve_vcc 1
		.amdhsa_float_round_mode_32 0
		.amdhsa_float_round_mode_16_64 0
		.amdhsa_float_denorm_mode_32 3
		.amdhsa_float_denorm_mode_16_64 3
		.amdhsa_fp16_overflow 0
		.amdhsa_memory_ordered 1
		.amdhsa_forward_progress 1
		.amdhsa_inst_pref_size 28
		.amdhsa_round_robin_scheduling 0
		.amdhsa_exception_fp_ieee_invalid_op 0
		.amdhsa_exception_fp_denorm_src 0
		.amdhsa_exception_fp_ieee_div_zero 0
		.amdhsa_exception_fp_ieee_overflow 0
		.amdhsa_exception_fp_ieee_underflow 0
		.amdhsa_exception_fp_ieee_inexact 0
		.amdhsa_exception_int_div_zero 0
	.end_amdhsa_kernel
	.section	.text._ZN9rocsparseL35csrgemm_symbolic_group_reduce_part2ILj256ELj11EliEEvT2_PKT1_PS1_Pij,"axG",@progbits,_ZN9rocsparseL35csrgemm_symbolic_group_reduce_part2ILj256ELj11EliEEvT2_PKT1_PS1_Pij,comdat
.Lfunc_end25:
	.size	_ZN9rocsparseL35csrgemm_symbolic_group_reduce_part2ILj256ELj11EliEEvT2_PKT1_PS1_Pij, .Lfunc_end25-_ZN9rocsparseL35csrgemm_symbolic_group_reduce_part2ILj256ELj11EliEEvT2_PKT1_PS1_Pij
                                        ; -- End function
	.set _ZN9rocsparseL35csrgemm_symbolic_group_reduce_part2ILj256ELj11EliEEvT2_PKT1_PS1_Pij.num_vgpr, 24
	.set _ZN9rocsparseL35csrgemm_symbolic_group_reduce_part2ILj256ELj11EliEEvT2_PKT1_PS1_Pij.num_agpr, 0
	.set _ZN9rocsparseL35csrgemm_symbolic_group_reduce_part2ILj256ELj11EliEEvT2_PKT1_PS1_Pij.numbered_sgpr, 26
	.set _ZN9rocsparseL35csrgemm_symbolic_group_reduce_part2ILj256ELj11EliEEvT2_PKT1_PS1_Pij.num_named_barrier, 0
	.set _ZN9rocsparseL35csrgemm_symbolic_group_reduce_part2ILj256ELj11EliEEvT2_PKT1_PS1_Pij.private_seg_size, 0
	.set _ZN9rocsparseL35csrgemm_symbolic_group_reduce_part2ILj256ELj11EliEEvT2_PKT1_PS1_Pij.uses_vcc, 1
	.set _ZN9rocsparseL35csrgemm_symbolic_group_reduce_part2ILj256ELj11EliEEvT2_PKT1_PS1_Pij.uses_flat_scratch, 0
	.set _ZN9rocsparseL35csrgemm_symbolic_group_reduce_part2ILj256ELj11EliEEvT2_PKT1_PS1_Pij.has_dyn_sized_stack, 0
	.set _ZN9rocsparseL35csrgemm_symbolic_group_reduce_part2ILj256ELj11EliEEvT2_PKT1_PS1_Pij.has_recursion, 0
	.set _ZN9rocsparseL35csrgemm_symbolic_group_reduce_part2ILj256ELj11EliEEvT2_PKT1_PS1_Pij.has_indirect_call, 0
	.section	.AMDGPU.csdata,"",@progbits
; Kernel info:
; codeLenInByte = 3468
; TotalNumSgprs: 28
; NumVgprs: 24
; ScratchSize: 0
; MemoryBound: 0
; FloatMode: 240
; IeeeMode: 1
; LDSByteSize: 11264 bytes/workgroup (compile time only)
; SGPRBlocks: 0
; VGPRBlocks: 1
; NumSGPRsForWavesPerEU: 28
; NumVGPRsForWavesPerEU: 24
; NamedBarCnt: 0
; Occupancy: 16
; WaveLimiterHint : 0
; COMPUTE_PGM_RSRC2:SCRATCH_EN: 0
; COMPUTE_PGM_RSRC2:USER_SGPR: 2
; COMPUTE_PGM_RSRC2:TRAP_HANDLER: 0
; COMPUTE_PGM_RSRC2:TGID_X_EN: 1
; COMPUTE_PGM_RSRC2:TGID_Y_EN: 0
; COMPUTE_PGM_RSRC2:TGID_Z_EN: 0
; COMPUTE_PGM_RSRC2:TIDIG_COMP_CNT: 0
	.section	.text._ZN9rocsparseL32csrgemm_symbolic_fill_wf_per_rowILj256ELj8ELj16ELj137EliEEvT4_S1_PKS1_S3_PKT3_S3_S6_S3_S6_S3_S6_PS1_21rocsparse_index_base_S8_S8_S8_bb,"axG",@progbits,_ZN9rocsparseL32csrgemm_symbolic_fill_wf_per_rowILj256ELj8ELj16ELj137EliEEvT4_S1_PKS1_S3_PKT3_S3_S6_S3_S6_S3_S6_PS1_21rocsparse_index_base_S8_S8_S8_bb,comdat
	.globl	_ZN9rocsparseL32csrgemm_symbolic_fill_wf_per_rowILj256ELj8ELj16ELj137EliEEvT4_S1_PKS1_S3_PKT3_S3_S6_S3_S6_S3_S6_PS1_21rocsparse_index_base_S8_S8_S8_bb ; -- Begin function _ZN9rocsparseL32csrgemm_symbolic_fill_wf_per_rowILj256ELj8ELj16ELj137EliEEvT4_S1_PKS1_S3_PKT3_S3_S6_S3_S6_S3_S6_PS1_21rocsparse_index_base_S8_S8_S8_bb
	.p2align	8
	.type	_ZN9rocsparseL32csrgemm_symbolic_fill_wf_per_rowILj256ELj8ELj16ELj137EliEEvT4_S1_PKS1_S3_PKT3_S3_S6_S3_S6_S3_S6_PS1_21rocsparse_index_base_S8_S8_S8_bb,@function
_ZN9rocsparseL32csrgemm_symbolic_fill_wf_per_rowILj256ELj8ELj16ELj137EliEEvT4_S1_PKS1_S3_PKT3_S3_S6_S3_S6_S3_S6_PS1_21rocsparse_index_base_S8_S8_S8_bb: ; @_ZN9rocsparseL32csrgemm_symbolic_fill_wf_per_rowILj256ELj8ELj16ELj137EliEEvT4_S1_PKS1_S3_PKT3_S3_S6_S3_S6_S3_S6_PS1_21rocsparse_index_base_S8_S8_S8_bb
; %bb.0:
	s_load_b64 s[2:3], s[0:1], 0x0
	s_bfe_u32 s4, ttmp6, 0x4000c
	s_and_b32 s5, ttmp6, 15
	s_add_co_i32 s4, s4, 1
	s_getreg_b32 s6, hwreg(HW_REG_IB_STS2, 6, 4)
	s_mul_i32 s4, ttmp9, s4
	v_dual_lshrrev_b32 v1, 3, v0 :: v_dual_bitop2_b32 v4, 7, v0 bitop3:0x40
	s_add_co_i32 s5, s5, s4
	s_cmp_eq_u32 s6, 0
	s_cselect_b32 s4, ttmp9, s5
	s_delay_alu instid0(VALU_DEP_1) | instskip(SKIP_1) | instid1(SALU_CYCLE_1)
	v_lshlrev_b32_e32 v12, 6, v1
	s_lshl_b32 s4, s4, 5
	v_and_or_b32 v6, 0x1fffffe0, s4, v1
	s_wait_kmcnt 0x0
	v_mov_b32_e32 v1, s3
	v_lshl_or_b32 v0, v4, 2, v12
	s_delay_alu instid0(VALU_DEP_3)
	v_cmp_gt_i32_e32 vcc_lo, s2, v6
	ds_store_2addr_b32 v0, v1, v1 offset1:8
	s_wait_dscnt 0x0
	s_and_saveexec_b32 s2, vcc_lo
	s_cbranch_execz .LBB26_36
; %bb.1:
	s_load_b64 s[4:5], s[0:1], 0x10
	s_wait_kmcnt 0x0
	s_cmp_eq_u64 s[4:5], 0
	s_cbranch_scc1 .LBB26_3
; %bb.2:
	s_load_b64 s[6:7], s[0:1], 0x8
	s_wait_kmcnt 0x0
	s_load_b32 s2, s[6:7], 0x0
	s_wait_kmcnt 0x0
	v_add_nc_u32_e32 v0, s2, v6
	global_load_b32 v6, v0, s[4:5] scale_offset
.LBB26_3:
	s_clause 0x1
	s_load_b32 s2, s[0:1], 0x68
	s_load_b128 s[4:7], s[0:1], 0x58
	s_wait_loadcnt 0x0
	v_ashrrev_i32_e32 v7, 31, v6
	s_mov_b32 s9, 0
	s_wait_kmcnt 0x0
	s_bitcmp0_b32 s2, 0
	s_cbranch_scc1 .LBB26_19
; %bb.4:
	s_load_b64 s[10:11], s[0:1], 0x18
	v_mov_b32_e32 v5, 0
	s_mov_b32 s8, s4
	s_mov_b32 s16, exec_lo
	s_delay_alu instid0(VALU_DEP_1)
	v_sub_nc_u64_e64 v[10:11], v[4:5], s[8:9]
	s_wait_kmcnt 0x0
	v_lshl_add_u64 v[0:1], v[6:7], 3, s[10:11]
	global_load_b128 v[0:3], v[0:1], off
	s_wait_loadcnt 0x0
	v_sub_nc_u64_e64 v[8:9], v[2:3], s[8:9]
	v_add_nc_u64_e32 v[10:11], v[0:1], v[10:11]
	s_delay_alu instid0(VALU_DEP_1)
	v_cmpx_lt_i64_e64 v[10:11], v[8:9]
	s_cbranch_execz .LBB26_18
; %bb.5:
	s_clause 0x1
	s_load_b128 s[8:11], s[0:1], 0x20
	s_load_b64 s[12:13], s[0:1], 0x30
	s_mov_b32 s15, 0
	s_mov_b32 s14, s5
	;; [unrolled: 1-line block ×3, first 2 shown]
	s_branch .LBB26_7
.LBB26_6:                               ;   in Loop: Header=BB26_7 Depth=1
	s_or_b32 exec_lo, exec_lo, s18
	v_add_nc_u64_e32 v[10:11], 8, v[10:11]
	s_delay_alu instid0(VALU_DEP_1) | instskip(SKIP_1) | instid1(SALU_CYCLE_1)
	v_cmp_ge_i64_e32 vcc_lo, v[10:11], v[8:9]
	s_or_b32 s17, vcc_lo, s17
	s_and_not1_b32 exec_lo, exec_lo, s17
	s_cbranch_execz .LBB26_18
.LBB26_7:                               ; =>This Loop Header: Depth=1
                                        ;     Child Loop BB26_10 Depth 2
                                        ;       Child Loop BB26_13 Depth 3
	s_wait_kmcnt 0x0
	v_lshl_add_u64 v[0:1], v[10:11], 2, s[8:9]
	s_mov_b32 s18, exec_lo
	global_load_b32 v0, v[0:1], off
	s_wait_loadcnt 0x0
	v_subrev_nc_u32_e32 v0, s4, v0
	s_delay_alu instid0(VALU_DEP_1) | instskip(NEXT) | instid1(VALU_DEP_1)
	v_ashrrev_i32_e32 v1, 31, v0
	v_lshl_add_u64 v[0:1], v[0:1], 3, s[10:11]
	global_load_b128 v[0:3], v[0:1], off
	s_wait_loadcnt 0x0
	v_cmpx_lt_i64_e64 v[0:1], v[2:3]
	s_cbranch_execz .LBB26_6
; %bb.8:                                ;   in Loop: Header=BB26_7 Depth=1
	v_sub_nc_u64_e64 v[2:3], v[2:3], s[14:15]
	v_sub_nc_u64_e64 v[0:1], v[0:1], s[14:15]
	s_mov_b32 s19, 0
	s_branch .LBB26_10
.LBB26_9:                               ;   in Loop: Header=BB26_10 Depth=2
	s_or_b32 exec_lo, exec_lo, s20
	v_add_nc_u64_e32 v[0:1], 1, v[0:1]
	s_delay_alu instid0(VALU_DEP_1) | instskip(SKIP_1) | instid1(SALU_CYCLE_1)
	v_cmp_ge_i64_e32 vcc_lo, v[0:1], v[2:3]
	s_or_b32 s19, vcc_lo, s19
	s_and_not1_b32 exec_lo, exec_lo, s19
	s_cbranch_execz .LBB26_6
.LBB26_10:                              ;   Parent Loop BB26_7 Depth=1
                                        ; =>  This Loop Header: Depth=2
                                        ;       Child Loop BB26_13 Depth 3
	s_delay_alu instid0(VALU_DEP_1) | instskip(SKIP_4) | instid1(VALU_DEP_1)
	v_lshl_add_u64 v[14:15], v[0:1], 2, s[12:13]
	s_mov_b32 s20, 0
                                        ; implicit-def: $sgpr21
	global_load_b32 v5, v[14:15], off
	s_wait_loadcnt 0x0
	v_subrev_nc_u32_e32 v5, s5, v5
	v_lshl_add_u32 v13, v5, 3, v5
	s_delay_alu instid0(VALU_DEP_1)
	v_and_b32_e32 v13, 15, v13
	s_branch .LBB26_13
.LBB26_11:                              ;   in Loop: Header=BB26_13 Depth=3
	s_or_b32 exec_lo, exec_lo, s23
	s_delay_alu instid0(SALU_CYCLE_1) | instskip(SKIP_1) | instid1(SALU_CYCLE_1)
	s_and_not1_b32 s21, s21, exec_lo
	s_and_b32 s23, s24, exec_lo
	s_or_b32 s21, s21, s23
.LBB26_12:                              ;   in Loop: Header=BB26_13 Depth=3
	s_or_b32 exec_lo, exec_lo, s22
	s_xor_b32 s22, s21, -1
	s_delay_alu instid0(SALU_CYCLE_1) | instskip(NEXT) | instid1(SALU_CYCLE_1)
	s_and_b32 s22, exec_lo, s22
	s_or_b32 s20, s22, s20
	s_delay_alu instid0(SALU_CYCLE_1)
	s_and_not1_b32 exec_lo, exec_lo, s20
	s_cbranch_execz .LBB26_9
.LBB26_13:                              ;   Parent Loop BB26_7 Depth=1
                                        ;     Parent Loop BB26_10 Depth=2
                                        ; =>    This Inner Loop Header: Depth=3
	s_delay_alu instid0(VALU_DEP_1)
	v_lshl_add_u32 v14, v13, 2, v12
	s_and_not1_b32 s21, s21, exec_lo
	s_mov_b32 s22, exec_lo
	ds_load_b32 v15, v14
	s_wait_dscnt 0x0
	v_cmpx_ne_u32_e64 v15, v5
	s_cbranch_execz .LBB26_12
; %bb.14:                               ;   in Loop: Header=BB26_13 Depth=3
	s_mov_b32 s23, exec_lo
	v_cmpx_ne_u32_e64 s3, v15
	s_xor_b32 s23, exec_lo, s23
; %bb.15:                               ;   in Loop: Header=BB26_13 Depth=3
	v_add_nc_u32_e32 v13, 1, v13
                                        ; implicit-def: $vgpr14
	s_delay_alu instid0(VALU_DEP_1)
	v_and_b32_e32 v13, 15, v13
; %bb.16:                               ;   in Loop: Header=BB26_13 Depth=3
	s_or_saveexec_b32 s23, s23
	s_mov_b32 s24, -1
	s_xor_b32 exec_lo, exec_lo, s23
	s_cbranch_execz .LBB26_11
; %bb.17:                               ;   in Loop: Header=BB26_13 Depth=3
	v_mov_b32_e32 v15, s3
	ds_cmpstore_rtn_b32 v14, v14, v5, v15
	s_wait_dscnt 0x0
	v_cmp_ne_u32_e32 vcc_lo, s3, v14
	s_or_not1_b32 s24, vcc_lo, exec_lo
	s_branch .LBB26_11
.LBB26_18:
	s_or_b32 exec_lo, exec_lo, s16
.LBB26_19:
	s_load_b128 s[8:11], s[0:1], 0x48
	s_bfe_u32 s2, s2, 0x10008
	s_delay_alu instid0(SALU_CYCLE_1)
	s_cmp_eq_u32 s2, 0
	s_cbranch_scc1 .LBB26_32
; %bb.20:
	s_load_b64 s[4:5], s[0:1], 0x38
	v_mov_b32_e32 v5, 0
	s_mov_b32 s2, exec_lo
	s_wait_kmcnt 0x0
	v_lshl_add_u64 v[0:1], v[6:7], 3, s[4:5]
	s_mov_b32 s5, 0
	s_mov_b32 s4, s7
	s_delay_alu instid0(SALU_CYCLE_1) | instskip(SKIP_4) | instid1(VALU_DEP_1)
	v_sub_nc_u64_e64 v[2:3], v[4:5], s[4:5]
	global_load_b128 v[8:11], v[0:1], off
	s_wait_loadcnt 0x0
	v_sub_nc_u64_e64 v[0:1], v[10:11], s[4:5]
	v_add_nc_u64_e32 v[2:3], v[8:9], v[2:3]
	v_cmpx_lt_i64_e64 v[2:3], v[0:1]
	s_cbranch_execz .LBB26_31
; %bb.21:
	s_load_b64 s[0:1], s[0:1], 0x40
	s_branch .LBB26_23
.LBB26_22:                              ;   in Loop: Header=BB26_23 Depth=1
	s_or_b32 exec_lo, exec_lo, s4
	v_add_nc_u64_e32 v[2:3], 8, v[2:3]
	s_delay_alu instid0(VALU_DEP_1) | instskip(SKIP_1) | instid1(SALU_CYCLE_1)
	v_cmp_ge_i64_e32 vcc_lo, v[2:3], v[0:1]
	s_or_b32 s5, vcc_lo, s5
	s_and_not1_b32 exec_lo, exec_lo, s5
	s_cbranch_execz .LBB26_31
.LBB26_23:                              ; =>This Loop Header: Depth=1
                                        ;     Child Loop BB26_26 Depth 2
	s_wait_kmcnt 0x0
	v_lshl_add_u64 v[8:9], v[2:3], 2, s[0:1]
	s_mov_b32 s4, 0
                                        ; implicit-def: $sgpr12
	global_load_b32 v5, v[8:9], off
	s_wait_loadcnt 0x0
	v_subrev_nc_u32_e32 v5, s7, v5
	s_delay_alu instid0(VALU_DEP_1) | instskip(NEXT) | instid1(VALU_DEP_1)
	v_lshl_add_u32 v8, v5, 3, v5
	v_and_b32_e32 v8, 15, v8
	s_branch .LBB26_26
.LBB26_24:                              ;   in Loop: Header=BB26_26 Depth=2
	s_or_b32 exec_lo, exec_lo, s14
	s_delay_alu instid0(SALU_CYCLE_1) | instskip(SKIP_1) | instid1(SALU_CYCLE_1)
	s_and_not1_b32 s12, s12, exec_lo
	s_and_b32 s14, s15, exec_lo
	s_or_b32 s12, s12, s14
.LBB26_25:                              ;   in Loop: Header=BB26_26 Depth=2
	s_or_b32 exec_lo, exec_lo, s13
	s_xor_b32 s13, s12, -1
	s_delay_alu instid0(SALU_CYCLE_1) | instskip(NEXT) | instid1(SALU_CYCLE_1)
	s_and_b32 s13, exec_lo, s13
	s_or_b32 s4, s13, s4
	s_delay_alu instid0(SALU_CYCLE_1)
	s_and_not1_b32 exec_lo, exec_lo, s4
	s_cbranch_execz .LBB26_22
.LBB26_26:                              ;   Parent Loop BB26_23 Depth=1
                                        ; =>  This Inner Loop Header: Depth=2
	s_delay_alu instid0(VALU_DEP_1)
	v_lshl_add_u32 v9, v8, 2, v12
	s_and_not1_b32 s12, s12, exec_lo
	s_mov_b32 s13, exec_lo
	ds_load_b32 v10, v9
	s_wait_dscnt 0x0
	v_cmpx_ne_u32_e64 v10, v5
	s_cbranch_execz .LBB26_25
; %bb.27:                               ;   in Loop: Header=BB26_26 Depth=2
	s_mov_b32 s14, exec_lo
	v_cmpx_ne_u32_e64 s3, v10
	s_xor_b32 s14, exec_lo, s14
; %bb.28:                               ;   in Loop: Header=BB26_26 Depth=2
	v_add_nc_u32_e32 v8, 1, v8
                                        ; implicit-def: $vgpr9
	s_delay_alu instid0(VALU_DEP_1)
	v_and_b32_e32 v8, 15, v8
; %bb.29:                               ;   in Loop: Header=BB26_26 Depth=2
	s_or_saveexec_b32 s14, s14
	s_mov_b32 s15, -1
	s_xor_b32 exec_lo, exec_lo, s14
	s_cbranch_execz .LBB26_24
; %bb.30:                               ;   in Loop: Header=BB26_26 Depth=2
	v_mov_b32_e32 v10, s3
	ds_cmpstore_rtn_b32 v9, v9, v5, v10
	s_wait_dscnt 0x0
	v_cmp_ne_u32_e32 vcc_lo, s3, v9
	s_or_not1_b32 s15, vcc_lo, exec_lo
	s_branch .LBB26_24
.LBB26_31:
	s_or_b32 exec_lo, exec_lo, s2
.LBB26_32:
	s_wait_kmcnt 0x0
	v_lshl_add_u64 v[0:1], v[6:7], 3, s[8:9]
	s_mov_b32 s7, 0
	v_dual_mov_b32 v3, 0 :: v_dual_bitop2_b32 v5, -8, v4 bitop3:0x54
	global_load_b64 v[0:1], v[0:1], off
	v_lshl_add_u32 v4, v4, 2, v12
	s_wait_loadcnt 0x0
	v_sub_nc_u64_e64 v[0:1], v[0:1], s[6:7]
	s_delay_alu instid0(VALU_DEP_1)
	v_lshl_add_u64 v[0:1], v[0:1], 2, s[10:11]
	s_branch .LBB26_34
.LBB26_33:                              ;   in Loop: Header=BB26_34 Depth=1
	s_wait_xcnt 0x0
	s_or_b32 exec_lo, exec_lo, s0
	v_add_co_u32 v5, s0, v5, 8
	s_xor_b32 s0, s0, -1
	v_add_nc_u32_e32 v4, 32, v4
	s_and_b32 s0, exec_lo, s0
	s_delay_alu instid0(SALU_CYCLE_1) | instskip(NEXT) | instid1(SALU_CYCLE_1)
	s_or_b32 s7, s0, s7
	s_and_not1_b32 exec_lo, exec_lo, s7
	s_cbranch_execz .LBB26_36
.LBB26_34:                              ; =>This Inner Loop Header: Depth=1
	ds_load_b32 v6, v4
	s_mov_b32 s0, exec_lo
	s_wait_dscnt 0x0
	v_cmpx_gt_i32_e64 s3, v6
	s_cbranch_execz .LBB26_33
; %bb.35:                               ;   in Loop: Header=BB26_34 Depth=1
	ds_load_b128 v[8:11], v12
	ds_load_b128 v[14:17], v12 offset:16
	s_wait_dscnt 0x1
	v_cmp_gt_i32_e32 vcc_lo, v6, v8
	v_cndmask_b32_e64 v2, 0, 1, vcc_lo
	v_cmp_gt_i32_e32 vcc_lo, v6, v9
	s_delay_alu instid0(VALU_DEP_2) | instskip(SKIP_2) | instid1(VALU_DEP_3)
	v_lshlrev_b32_e32 v2, 2, v2
	v_cndmask_b32_e64 v7, 0, 1, vcc_lo
	v_cmp_gt_i32_e32 vcc_lo, v6, v10
	v_add_nc_u64_e32 v[8:9], v[0:1], v[2:3]
	s_delay_alu instid0(VALU_DEP_3) | instskip(SKIP_2) | instid1(VALU_DEP_3)
	v_lshlrev_b32_e32 v2, 2, v7
	v_cndmask_b32_e64 v7, 0, 1, vcc_lo
	v_cmp_gt_i32_e32 vcc_lo, v6, v11
	v_add_nc_u64_e32 v[8:9], v[8:9], v[2:3]
	s_delay_alu instid0(VALU_DEP_3) | instskip(SKIP_3) | instid1(VALU_DEP_3)
	v_lshlrev_b32_e32 v2, 2, v7
	v_cndmask_b32_e64 v7, 0, 1, vcc_lo
	s_wait_dscnt 0x0
	v_cmp_gt_i32_e32 vcc_lo, v6, v14
	v_add_nc_u64_e32 v[8:9], v[8:9], v[2:3]
	s_delay_alu instid0(VALU_DEP_3) | instskip(SKIP_2) | instid1(VALU_DEP_3)
	v_lshlrev_b32_e32 v2, 2, v7
	v_cndmask_b32_e64 v7, 0, 1, vcc_lo
	v_cmp_gt_i32_e32 vcc_lo, v6, v15
	v_add_nc_u64_e32 v[18:19], v[8:9], v[2:3]
	ds_load_b128 v[8:11], v12 offset:32
	v_lshlrev_b32_e32 v2, 2, v7
	v_cndmask_b32_e64 v7, 0, 1, vcc_lo
	v_cmp_gt_i32_e32 vcc_lo, v6, v16
	s_delay_alu instid0(VALU_DEP_3) | instskip(NEXT) | instid1(VALU_DEP_3)
	v_add_nc_u64_e32 v[14:15], v[18:19], v[2:3]
	v_lshlrev_b32_e32 v2, 2, v7
	v_cndmask_b32_e64 v7, 0, 1, vcc_lo
	v_cmp_gt_i32_e32 vcc_lo, v6, v17
	s_delay_alu instid0(VALU_DEP_3) | instskip(NEXT) | instid1(VALU_DEP_3)
	v_add_nc_u64_e32 v[14:15], v[14:15], v[2:3]
	v_lshlrev_b32_e32 v2, 2, v7
	v_cndmask_b32_e64 v7, 0, 1, vcc_lo
	s_delay_alu instid0(VALU_DEP_2)
	v_add_nc_u64_e32 v[18:19], v[14:15], v[2:3]
	ds_load_b128 v[14:17], v12 offset:48
	s_wait_dscnt 0x1
	v_cmp_gt_i32_e32 vcc_lo, v6, v8
	v_lshlrev_b32_e32 v2, 2, v7
	v_cndmask_b32_e64 v7, 0, 1, vcc_lo
	v_cmp_gt_i32_e32 vcc_lo, v6, v9
	s_delay_alu instid0(VALU_DEP_3) | instskip(NEXT) | instid1(VALU_DEP_3)
	v_add_nc_u64_e32 v[18:19], v[18:19], v[2:3]
	v_lshlrev_b32_e32 v2, 2, v7
	v_cndmask_b32_e64 v7, 0, 1, vcc_lo
	v_cmp_gt_i32_e32 vcc_lo, v6, v10
	s_delay_alu instid0(VALU_DEP_3) | instskip(NEXT) | instid1(VALU_DEP_3)
	v_add_nc_u64_e32 v[8:9], v[18:19], v[2:3]
	;; [unrolled: 5-line block ×3, first 2 shown]
	v_lshlrev_b32_e32 v2, 2, v7
	v_cndmask_b32_e64 v7, 0, 1, vcc_lo
	s_wait_dscnt 0x0
	v_cmp_gt_i32_e32 vcc_lo, v6, v14
	s_delay_alu instid0(VALU_DEP_3) | instskip(NEXT) | instid1(VALU_DEP_3)
	v_add_nc_u64_e32 v[8:9], v[8:9], v[2:3]
	v_lshlrev_b32_e32 v2, 2, v7
	v_cndmask_b32_e64 v7, 0, 1, vcc_lo
	v_cmp_gt_i32_e32 vcc_lo, v6, v15
	s_delay_alu instid0(VALU_DEP_3) | instskip(NEXT) | instid1(VALU_DEP_3)
	v_add_nc_u64_e32 v[8:9], v[8:9], v[2:3]
	v_lshlrev_b32_e32 v2, 2, v7
	v_cndmask_b32_e64 v7, 0, 1, vcc_lo
	;; [unrolled: 5-line block ×4, first 2 shown]
	s_delay_alu instid0(VALU_DEP_2) | instskip(NEXT) | instid1(VALU_DEP_2)
	v_add_nc_u64_e32 v[8:9], v[8:9], v[2:3]
	v_lshlrev_b32_e32 v2, 2, v7
	s_delay_alu instid0(VALU_DEP_1)
	v_add_nc_u64_e32 v[8:9], v[8:9], v[2:3]
	v_add_nc_u32_e32 v2, s6, v6
	global_store_b32 v[8:9], v2, off
	s_branch .LBB26_33
.LBB26_36:
	s_endpgm
	.section	.rodata,"a",@progbits
	.p2align	6, 0x0
	.amdhsa_kernel _ZN9rocsparseL32csrgemm_symbolic_fill_wf_per_rowILj256ELj8ELj16ELj137EliEEvT4_S1_PKS1_S3_PKT3_S3_S6_S3_S6_S3_S6_PS1_21rocsparse_index_base_S8_S8_S8_bb
		.amdhsa_group_segment_fixed_size 2048
		.amdhsa_private_segment_fixed_size 0
		.amdhsa_kernarg_size 108
		.amdhsa_user_sgpr_count 2
		.amdhsa_user_sgpr_dispatch_ptr 0
		.amdhsa_user_sgpr_queue_ptr 0
		.amdhsa_user_sgpr_kernarg_segment_ptr 1
		.amdhsa_user_sgpr_dispatch_id 0
		.amdhsa_user_sgpr_kernarg_preload_length 0
		.amdhsa_user_sgpr_kernarg_preload_offset 0
		.amdhsa_user_sgpr_private_segment_size 0
		.amdhsa_wavefront_size32 1
		.amdhsa_uses_dynamic_stack 0
		.amdhsa_enable_private_segment 0
		.amdhsa_system_sgpr_workgroup_id_x 1
		.amdhsa_system_sgpr_workgroup_id_y 0
		.amdhsa_system_sgpr_workgroup_id_z 0
		.amdhsa_system_sgpr_workgroup_info 0
		.amdhsa_system_vgpr_workitem_id 0
		.amdhsa_next_free_vgpr 20
		.amdhsa_next_free_sgpr 25
		.amdhsa_named_barrier_count 0
		.amdhsa_reserve_vcc 1
		.amdhsa_float_round_mode_32 0
		.amdhsa_float_round_mode_16_64 0
		.amdhsa_float_denorm_mode_32 3
		.amdhsa_float_denorm_mode_16_64 3
		.amdhsa_fp16_overflow 0
		.amdhsa_memory_ordered 1
		.amdhsa_forward_progress 1
		.amdhsa_inst_pref_size 14
		.amdhsa_round_robin_scheduling 0
		.amdhsa_exception_fp_ieee_invalid_op 0
		.amdhsa_exception_fp_denorm_src 0
		.amdhsa_exception_fp_ieee_div_zero 0
		.amdhsa_exception_fp_ieee_overflow 0
		.amdhsa_exception_fp_ieee_underflow 0
		.amdhsa_exception_fp_ieee_inexact 0
		.amdhsa_exception_int_div_zero 0
	.end_amdhsa_kernel
	.section	.text._ZN9rocsparseL32csrgemm_symbolic_fill_wf_per_rowILj256ELj8ELj16ELj137EliEEvT4_S1_PKS1_S3_PKT3_S3_S6_S3_S6_S3_S6_PS1_21rocsparse_index_base_S8_S8_S8_bb,"axG",@progbits,_ZN9rocsparseL32csrgemm_symbolic_fill_wf_per_rowILj256ELj8ELj16ELj137EliEEvT4_S1_PKS1_S3_PKT3_S3_S6_S3_S6_S3_S6_PS1_21rocsparse_index_base_S8_S8_S8_bb,comdat
.Lfunc_end26:
	.size	_ZN9rocsparseL32csrgemm_symbolic_fill_wf_per_rowILj256ELj8ELj16ELj137EliEEvT4_S1_PKS1_S3_PKT3_S3_S6_S3_S6_S3_S6_PS1_21rocsparse_index_base_S8_S8_S8_bb, .Lfunc_end26-_ZN9rocsparseL32csrgemm_symbolic_fill_wf_per_rowILj256ELj8ELj16ELj137EliEEvT4_S1_PKS1_S3_PKT3_S3_S6_S3_S6_S3_S6_PS1_21rocsparse_index_base_S8_S8_S8_bb
                                        ; -- End function
	.set _ZN9rocsparseL32csrgemm_symbolic_fill_wf_per_rowILj256ELj8ELj16ELj137EliEEvT4_S1_PKS1_S3_PKT3_S3_S6_S3_S6_S3_S6_PS1_21rocsparse_index_base_S8_S8_S8_bb.num_vgpr, 20
	.set _ZN9rocsparseL32csrgemm_symbolic_fill_wf_per_rowILj256ELj8ELj16ELj137EliEEvT4_S1_PKS1_S3_PKT3_S3_S6_S3_S6_S3_S6_PS1_21rocsparse_index_base_S8_S8_S8_bb.num_agpr, 0
	.set _ZN9rocsparseL32csrgemm_symbolic_fill_wf_per_rowILj256ELj8ELj16ELj137EliEEvT4_S1_PKS1_S3_PKT3_S3_S6_S3_S6_S3_S6_PS1_21rocsparse_index_base_S8_S8_S8_bb.numbered_sgpr, 25
	.set _ZN9rocsparseL32csrgemm_symbolic_fill_wf_per_rowILj256ELj8ELj16ELj137EliEEvT4_S1_PKS1_S3_PKT3_S3_S6_S3_S6_S3_S6_PS1_21rocsparse_index_base_S8_S8_S8_bb.num_named_barrier, 0
	.set _ZN9rocsparseL32csrgemm_symbolic_fill_wf_per_rowILj256ELj8ELj16ELj137EliEEvT4_S1_PKS1_S3_PKT3_S3_S6_S3_S6_S3_S6_PS1_21rocsparse_index_base_S8_S8_S8_bb.private_seg_size, 0
	.set _ZN9rocsparseL32csrgemm_symbolic_fill_wf_per_rowILj256ELj8ELj16ELj137EliEEvT4_S1_PKS1_S3_PKT3_S3_S6_S3_S6_S3_S6_PS1_21rocsparse_index_base_S8_S8_S8_bb.uses_vcc, 1
	.set _ZN9rocsparseL32csrgemm_symbolic_fill_wf_per_rowILj256ELj8ELj16ELj137EliEEvT4_S1_PKS1_S3_PKT3_S3_S6_S3_S6_S3_S6_PS1_21rocsparse_index_base_S8_S8_S8_bb.uses_flat_scratch, 0
	.set _ZN9rocsparseL32csrgemm_symbolic_fill_wf_per_rowILj256ELj8ELj16ELj137EliEEvT4_S1_PKS1_S3_PKT3_S3_S6_S3_S6_S3_S6_PS1_21rocsparse_index_base_S8_S8_S8_bb.has_dyn_sized_stack, 0
	.set _ZN9rocsparseL32csrgemm_symbolic_fill_wf_per_rowILj256ELj8ELj16ELj137EliEEvT4_S1_PKS1_S3_PKT3_S3_S6_S3_S6_S3_S6_PS1_21rocsparse_index_base_S8_S8_S8_bb.has_recursion, 0
	.set _ZN9rocsparseL32csrgemm_symbolic_fill_wf_per_rowILj256ELj8ELj16ELj137EliEEvT4_S1_PKS1_S3_PKT3_S3_S6_S3_S6_S3_S6_PS1_21rocsparse_index_base_S8_S8_S8_bb.has_indirect_call, 0
	.section	.AMDGPU.csdata,"",@progbits
; Kernel info:
; codeLenInByte = 1728
; TotalNumSgprs: 27
; NumVgprs: 20
; ScratchSize: 0
; MemoryBound: 0
; FloatMode: 240
; IeeeMode: 1
; LDSByteSize: 2048 bytes/workgroup (compile time only)
; SGPRBlocks: 0
; VGPRBlocks: 1
; NumSGPRsForWavesPerEU: 27
; NumVGPRsForWavesPerEU: 20
; NamedBarCnt: 0
; Occupancy: 16
; WaveLimiterHint : 1
; COMPUTE_PGM_RSRC2:SCRATCH_EN: 0
; COMPUTE_PGM_RSRC2:USER_SGPR: 2
; COMPUTE_PGM_RSRC2:TRAP_HANDLER: 0
; COMPUTE_PGM_RSRC2:TGID_X_EN: 1
; COMPUTE_PGM_RSRC2:TGID_Y_EN: 0
; COMPUTE_PGM_RSRC2:TGID_Z_EN: 0
; COMPUTE_PGM_RSRC2:TIDIG_COMP_CNT: 0
	.section	.text._ZN9rocsparseL32csrgemm_symbolic_fill_wf_per_rowILj256ELj16ELj32ELj137EliEEvT4_S1_PKS1_S3_PKT3_S3_S6_S3_S6_S3_S6_PS1_21rocsparse_index_base_S8_S8_S8_bb,"axG",@progbits,_ZN9rocsparseL32csrgemm_symbolic_fill_wf_per_rowILj256ELj16ELj32ELj137EliEEvT4_S1_PKS1_S3_PKT3_S3_S6_S3_S6_S3_S6_PS1_21rocsparse_index_base_S8_S8_S8_bb,comdat
	.globl	_ZN9rocsparseL32csrgemm_symbolic_fill_wf_per_rowILj256ELj16ELj32ELj137EliEEvT4_S1_PKS1_S3_PKT3_S3_S6_S3_S6_S3_S6_PS1_21rocsparse_index_base_S8_S8_S8_bb ; -- Begin function _ZN9rocsparseL32csrgemm_symbolic_fill_wf_per_rowILj256ELj16ELj32ELj137EliEEvT4_S1_PKS1_S3_PKT3_S3_S6_S3_S6_S3_S6_PS1_21rocsparse_index_base_S8_S8_S8_bb
	.p2align	8
	.type	_ZN9rocsparseL32csrgemm_symbolic_fill_wf_per_rowILj256ELj16ELj32ELj137EliEEvT4_S1_PKS1_S3_PKT3_S3_S6_S3_S6_S3_S6_PS1_21rocsparse_index_base_S8_S8_S8_bb,@function
_ZN9rocsparseL32csrgemm_symbolic_fill_wf_per_rowILj256ELj16ELj32ELj137EliEEvT4_S1_PKS1_S3_PKT3_S3_S6_S3_S6_S3_S6_PS1_21rocsparse_index_base_S8_S8_S8_bb: ; @_ZN9rocsparseL32csrgemm_symbolic_fill_wf_per_rowILj256ELj16ELj32ELj137EliEEvT4_S1_PKS1_S3_PKT3_S3_S6_S3_S6_S3_S6_PS1_21rocsparse_index_base_S8_S8_S8_bb
; %bb.0:
	s_load_b64 s[2:3], s[0:1], 0x0
	s_bfe_u32 s4, ttmp6, 0x4000c
	s_and_b32 s5, ttmp6, 15
	s_add_co_i32 s4, s4, 1
	s_getreg_b32 s6, hwreg(HW_REG_IB_STS2, 6, 4)
	s_mul_i32 s4, ttmp9, s4
	v_dual_lshrrev_b32 v1, 4, v0 :: v_dual_bitop2_b32 v4, 15, v0 bitop3:0x40
	s_add_co_i32 s5, s5, s4
	s_cmp_eq_u32 s6, 0
	s_cselect_b32 s4, ttmp9, s5
	s_delay_alu instid0(VALU_DEP_1) | instskip(SKIP_1) | instid1(SALU_CYCLE_1)
	v_lshlrev_b32_e32 v12, 7, v1
	s_lshl_b32 s4, s4, 4
	v_and_or_b32 v6, 0xffffff0, s4, v1
	s_wait_kmcnt 0x0
	v_mov_b32_e32 v1, s3
	v_lshl_or_b32 v0, v4, 2, v12
	s_delay_alu instid0(VALU_DEP_3)
	v_cmp_gt_i32_e32 vcc_lo, s2, v6
	ds_store_2addr_b32 v0, v1, v1 offset1:16
	s_wait_dscnt 0x0
	s_and_saveexec_b32 s2, vcc_lo
	s_cbranch_execz .LBB27_36
; %bb.1:
	s_load_b64 s[4:5], s[0:1], 0x10
	s_wait_kmcnt 0x0
	s_cmp_eq_u64 s[4:5], 0
	s_cbranch_scc1 .LBB27_3
; %bb.2:
	s_load_b64 s[6:7], s[0:1], 0x8
	s_wait_kmcnt 0x0
	s_load_b32 s2, s[6:7], 0x0
	s_wait_kmcnt 0x0
	v_add_nc_u32_e32 v0, s2, v6
	global_load_b32 v6, v0, s[4:5] scale_offset
.LBB27_3:
	s_clause 0x1
	s_load_b32 s2, s[0:1], 0x68
	s_load_b128 s[4:7], s[0:1], 0x58
	s_wait_loadcnt 0x0
	v_ashrrev_i32_e32 v7, 31, v6
	s_mov_b32 s9, 0
	s_wait_kmcnt 0x0
	s_bitcmp0_b32 s2, 0
	s_cbranch_scc1 .LBB27_19
; %bb.4:
	s_load_b64 s[10:11], s[0:1], 0x18
	v_mov_b32_e32 v5, 0
	s_mov_b32 s8, s4
	s_mov_b32 s16, exec_lo
	s_delay_alu instid0(VALU_DEP_1)
	v_sub_nc_u64_e64 v[10:11], v[4:5], s[8:9]
	s_wait_kmcnt 0x0
	v_lshl_add_u64 v[0:1], v[6:7], 3, s[10:11]
	global_load_b128 v[0:3], v[0:1], off
	s_wait_loadcnt 0x0
	v_sub_nc_u64_e64 v[8:9], v[2:3], s[8:9]
	v_add_nc_u64_e32 v[10:11], v[0:1], v[10:11]
	s_delay_alu instid0(VALU_DEP_1)
	v_cmpx_lt_i64_e64 v[10:11], v[8:9]
	s_cbranch_execz .LBB27_18
; %bb.5:
	s_clause 0x1
	s_load_b128 s[8:11], s[0:1], 0x20
	s_load_b64 s[12:13], s[0:1], 0x30
	s_mov_b32 s15, 0
	s_mov_b32 s14, s5
	;; [unrolled: 1-line block ×3, first 2 shown]
	s_branch .LBB27_7
.LBB27_6:                               ;   in Loop: Header=BB27_7 Depth=1
	s_or_b32 exec_lo, exec_lo, s18
	v_add_nc_u64_e32 v[10:11], 16, v[10:11]
	s_delay_alu instid0(VALU_DEP_1) | instskip(SKIP_1) | instid1(SALU_CYCLE_1)
	v_cmp_ge_i64_e32 vcc_lo, v[10:11], v[8:9]
	s_or_b32 s17, vcc_lo, s17
	s_and_not1_b32 exec_lo, exec_lo, s17
	s_cbranch_execz .LBB27_18
.LBB27_7:                               ; =>This Loop Header: Depth=1
                                        ;     Child Loop BB27_10 Depth 2
                                        ;       Child Loop BB27_13 Depth 3
	s_wait_kmcnt 0x0
	v_lshl_add_u64 v[0:1], v[10:11], 2, s[8:9]
	s_mov_b32 s18, exec_lo
	global_load_b32 v0, v[0:1], off
	s_wait_loadcnt 0x0
	v_subrev_nc_u32_e32 v0, s4, v0
	s_delay_alu instid0(VALU_DEP_1) | instskip(NEXT) | instid1(VALU_DEP_1)
	v_ashrrev_i32_e32 v1, 31, v0
	v_lshl_add_u64 v[0:1], v[0:1], 3, s[10:11]
	global_load_b128 v[0:3], v[0:1], off
	s_wait_loadcnt 0x0
	v_cmpx_lt_i64_e64 v[0:1], v[2:3]
	s_cbranch_execz .LBB27_6
; %bb.8:                                ;   in Loop: Header=BB27_7 Depth=1
	v_sub_nc_u64_e64 v[2:3], v[2:3], s[14:15]
	v_sub_nc_u64_e64 v[0:1], v[0:1], s[14:15]
	s_mov_b32 s19, 0
	s_branch .LBB27_10
.LBB27_9:                               ;   in Loop: Header=BB27_10 Depth=2
	s_or_b32 exec_lo, exec_lo, s20
	v_add_nc_u64_e32 v[0:1], 1, v[0:1]
	s_delay_alu instid0(VALU_DEP_1) | instskip(SKIP_1) | instid1(SALU_CYCLE_1)
	v_cmp_ge_i64_e32 vcc_lo, v[0:1], v[2:3]
	s_or_b32 s19, vcc_lo, s19
	s_and_not1_b32 exec_lo, exec_lo, s19
	s_cbranch_execz .LBB27_6
.LBB27_10:                              ;   Parent Loop BB27_7 Depth=1
                                        ; =>  This Loop Header: Depth=2
                                        ;       Child Loop BB27_13 Depth 3
	s_delay_alu instid0(VALU_DEP_1) | instskip(SKIP_4) | instid1(VALU_DEP_1)
	v_lshl_add_u64 v[14:15], v[0:1], 2, s[12:13]
	s_mov_b32 s20, 0
                                        ; implicit-def: $sgpr21
	global_load_b32 v5, v[14:15], off
	s_wait_loadcnt 0x0
	v_subrev_nc_u32_e32 v5, s5, v5
	v_lshl_add_u32 v13, v5, 3, v5
	s_delay_alu instid0(VALU_DEP_1)
	v_and_b32_e32 v13, 31, v13
	s_branch .LBB27_13
.LBB27_11:                              ;   in Loop: Header=BB27_13 Depth=3
	s_or_b32 exec_lo, exec_lo, s23
	s_delay_alu instid0(SALU_CYCLE_1) | instskip(SKIP_1) | instid1(SALU_CYCLE_1)
	s_and_not1_b32 s21, s21, exec_lo
	s_and_b32 s23, s24, exec_lo
	s_or_b32 s21, s21, s23
.LBB27_12:                              ;   in Loop: Header=BB27_13 Depth=3
	s_or_b32 exec_lo, exec_lo, s22
	s_xor_b32 s22, s21, -1
	s_delay_alu instid0(SALU_CYCLE_1) | instskip(NEXT) | instid1(SALU_CYCLE_1)
	s_and_b32 s22, exec_lo, s22
	s_or_b32 s20, s22, s20
	s_delay_alu instid0(SALU_CYCLE_1)
	s_and_not1_b32 exec_lo, exec_lo, s20
	s_cbranch_execz .LBB27_9
.LBB27_13:                              ;   Parent Loop BB27_7 Depth=1
                                        ;     Parent Loop BB27_10 Depth=2
                                        ; =>    This Inner Loop Header: Depth=3
	s_delay_alu instid0(VALU_DEP_1)
	v_lshl_add_u32 v14, v13, 2, v12
	s_and_not1_b32 s21, s21, exec_lo
	s_mov_b32 s22, exec_lo
	ds_load_b32 v15, v14
	s_wait_dscnt 0x0
	v_cmpx_ne_u32_e64 v15, v5
	s_cbranch_execz .LBB27_12
; %bb.14:                               ;   in Loop: Header=BB27_13 Depth=3
	s_mov_b32 s23, exec_lo
	v_cmpx_ne_u32_e64 s3, v15
	s_xor_b32 s23, exec_lo, s23
; %bb.15:                               ;   in Loop: Header=BB27_13 Depth=3
	v_add_nc_u32_e32 v13, 1, v13
                                        ; implicit-def: $vgpr14
	s_delay_alu instid0(VALU_DEP_1)
	v_and_b32_e32 v13, 31, v13
; %bb.16:                               ;   in Loop: Header=BB27_13 Depth=3
	s_or_saveexec_b32 s23, s23
	s_mov_b32 s24, -1
	s_xor_b32 exec_lo, exec_lo, s23
	s_cbranch_execz .LBB27_11
; %bb.17:                               ;   in Loop: Header=BB27_13 Depth=3
	v_mov_b32_e32 v15, s3
	ds_cmpstore_rtn_b32 v14, v14, v5, v15
	s_wait_dscnt 0x0
	v_cmp_ne_u32_e32 vcc_lo, s3, v14
	s_or_not1_b32 s24, vcc_lo, exec_lo
	s_branch .LBB27_11
.LBB27_18:
	s_or_b32 exec_lo, exec_lo, s16
.LBB27_19:
	s_load_b128 s[8:11], s[0:1], 0x48
	s_bfe_u32 s2, s2, 0x10008
	s_delay_alu instid0(SALU_CYCLE_1)
	s_cmp_eq_u32 s2, 0
	s_cbranch_scc1 .LBB27_32
; %bb.20:
	s_load_b64 s[4:5], s[0:1], 0x38
	v_mov_b32_e32 v5, 0
	s_mov_b32 s2, exec_lo
	s_wait_kmcnt 0x0
	v_lshl_add_u64 v[0:1], v[6:7], 3, s[4:5]
	s_mov_b32 s5, 0
	s_mov_b32 s4, s7
	s_delay_alu instid0(SALU_CYCLE_1) | instskip(SKIP_4) | instid1(VALU_DEP_1)
	v_sub_nc_u64_e64 v[2:3], v[4:5], s[4:5]
	global_load_b128 v[8:11], v[0:1], off
	s_wait_loadcnt 0x0
	v_sub_nc_u64_e64 v[0:1], v[10:11], s[4:5]
	v_add_nc_u64_e32 v[2:3], v[8:9], v[2:3]
	v_cmpx_lt_i64_e64 v[2:3], v[0:1]
	s_cbranch_execz .LBB27_31
; %bb.21:
	s_load_b64 s[0:1], s[0:1], 0x40
	s_branch .LBB27_23
.LBB27_22:                              ;   in Loop: Header=BB27_23 Depth=1
	s_or_b32 exec_lo, exec_lo, s4
	v_add_nc_u64_e32 v[2:3], 16, v[2:3]
	s_delay_alu instid0(VALU_DEP_1) | instskip(SKIP_1) | instid1(SALU_CYCLE_1)
	v_cmp_ge_i64_e32 vcc_lo, v[2:3], v[0:1]
	s_or_b32 s5, vcc_lo, s5
	s_and_not1_b32 exec_lo, exec_lo, s5
	s_cbranch_execz .LBB27_31
.LBB27_23:                              ; =>This Loop Header: Depth=1
                                        ;     Child Loop BB27_26 Depth 2
	s_wait_kmcnt 0x0
	v_lshl_add_u64 v[8:9], v[2:3], 2, s[0:1]
	s_mov_b32 s4, 0
                                        ; implicit-def: $sgpr12
	global_load_b32 v5, v[8:9], off
	s_wait_loadcnt 0x0
	v_subrev_nc_u32_e32 v5, s7, v5
	s_delay_alu instid0(VALU_DEP_1) | instskip(NEXT) | instid1(VALU_DEP_1)
	v_lshl_add_u32 v8, v5, 3, v5
	v_and_b32_e32 v8, 31, v8
	s_branch .LBB27_26
.LBB27_24:                              ;   in Loop: Header=BB27_26 Depth=2
	s_or_b32 exec_lo, exec_lo, s14
	s_delay_alu instid0(SALU_CYCLE_1) | instskip(SKIP_1) | instid1(SALU_CYCLE_1)
	s_and_not1_b32 s12, s12, exec_lo
	s_and_b32 s14, s15, exec_lo
	s_or_b32 s12, s12, s14
.LBB27_25:                              ;   in Loop: Header=BB27_26 Depth=2
	s_or_b32 exec_lo, exec_lo, s13
	s_xor_b32 s13, s12, -1
	s_delay_alu instid0(SALU_CYCLE_1) | instskip(NEXT) | instid1(SALU_CYCLE_1)
	s_and_b32 s13, exec_lo, s13
	s_or_b32 s4, s13, s4
	s_delay_alu instid0(SALU_CYCLE_1)
	s_and_not1_b32 exec_lo, exec_lo, s4
	s_cbranch_execz .LBB27_22
.LBB27_26:                              ;   Parent Loop BB27_23 Depth=1
                                        ; =>  This Inner Loop Header: Depth=2
	s_delay_alu instid0(VALU_DEP_1)
	v_lshl_add_u32 v9, v8, 2, v12
	s_and_not1_b32 s12, s12, exec_lo
	s_mov_b32 s13, exec_lo
	ds_load_b32 v10, v9
	s_wait_dscnt 0x0
	v_cmpx_ne_u32_e64 v10, v5
	s_cbranch_execz .LBB27_25
; %bb.27:                               ;   in Loop: Header=BB27_26 Depth=2
	s_mov_b32 s14, exec_lo
	v_cmpx_ne_u32_e64 s3, v10
	s_xor_b32 s14, exec_lo, s14
; %bb.28:                               ;   in Loop: Header=BB27_26 Depth=2
	v_add_nc_u32_e32 v8, 1, v8
                                        ; implicit-def: $vgpr9
	s_delay_alu instid0(VALU_DEP_1)
	v_and_b32_e32 v8, 31, v8
; %bb.29:                               ;   in Loop: Header=BB27_26 Depth=2
	s_or_saveexec_b32 s14, s14
	s_mov_b32 s15, -1
	s_xor_b32 exec_lo, exec_lo, s14
	s_cbranch_execz .LBB27_24
; %bb.30:                               ;   in Loop: Header=BB27_26 Depth=2
	v_mov_b32_e32 v10, s3
	ds_cmpstore_rtn_b32 v9, v9, v5, v10
	s_wait_dscnt 0x0
	v_cmp_ne_u32_e32 vcc_lo, s3, v9
	s_or_not1_b32 s15, vcc_lo, exec_lo
	s_branch .LBB27_24
.LBB27_31:
	s_or_b32 exec_lo, exec_lo, s2
.LBB27_32:
	s_wait_kmcnt 0x0
	v_lshl_add_u64 v[0:1], v[6:7], 3, s[8:9]
	s_mov_b32 s7, 0
	v_dual_mov_b32 v3, 0 :: v_dual_bitop2_b32 v5, -16, v4 bitop3:0x54
	global_load_b64 v[0:1], v[0:1], off
	v_lshl_add_u32 v4, v4, 2, v12
	s_wait_loadcnt 0x0
	v_sub_nc_u64_e64 v[0:1], v[0:1], s[6:7]
	s_delay_alu instid0(VALU_DEP_1)
	v_lshl_add_u64 v[0:1], v[0:1], 2, s[10:11]
	s_branch .LBB27_34
.LBB27_33:                              ;   in Loop: Header=BB27_34 Depth=1
	s_wait_xcnt 0x0
	s_or_b32 exec_lo, exec_lo, s0
	v_add_co_u32 v5, s0, v5, 16
	s_xor_b32 s0, s0, -1
	v_add_nc_u32_e32 v4, 64, v4
	s_and_b32 s0, exec_lo, s0
	s_delay_alu instid0(SALU_CYCLE_1) | instskip(NEXT) | instid1(SALU_CYCLE_1)
	s_or_b32 s7, s0, s7
	s_and_not1_b32 exec_lo, exec_lo, s7
	s_cbranch_execz .LBB27_36
.LBB27_34:                              ; =>This Inner Loop Header: Depth=1
	ds_load_b32 v6, v4
	s_mov_b32 s0, exec_lo
	s_wait_dscnt 0x0
	v_cmpx_gt_i32_e64 s3, v6
	s_cbranch_execz .LBB27_33
; %bb.35:                               ;   in Loop: Header=BB27_34 Depth=1
	ds_load_b128 v[8:11], v12
	ds_load_b128 v[14:17], v12 offset:16
	s_wait_dscnt 0x1
	v_cmp_gt_i32_e32 vcc_lo, v6, v8
	v_cndmask_b32_e64 v2, 0, 1, vcc_lo
	v_cmp_gt_i32_e32 vcc_lo, v6, v9
	s_delay_alu instid0(VALU_DEP_2) | instskip(SKIP_2) | instid1(VALU_DEP_3)
	v_lshlrev_b32_e32 v2, 2, v2
	v_cndmask_b32_e64 v7, 0, 1, vcc_lo
	v_cmp_gt_i32_e32 vcc_lo, v6, v10
	v_add_nc_u64_e32 v[8:9], v[0:1], v[2:3]
	s_delay_alu instid0(VALU_DEP_3) | instskip(SKIP_2) | instid1(VALU_DEP_3)
	v_lshlrev_b32_e32 v2, 2, v7
	v_cndmask_b32_e64 v7, 0, 1, vcc_lo
	v_cmp_gt_i32_e32 vcc_lo, v6, v11
	v_add_nc_u64_e32 v[8:9], v[8:9], v[2:3]
	s_delay_alu instid0(VALU_DEP_3) | instskip(SKIP_3) | instid1(VALU_DEP_3)
	v_lshlrev_b32_e32 v2, 2, v7
	v_cndmask_b32_e64 v7, 0, 1, vcc_lo
	s_wait_dscnt 0x0
	v_cmp_gt_i32_e32 vcc_lo, v6, v14
	v_add_nc_u64_e32 v[8:9], v[8:9], v[2:3]
	s_delay_alu instid0(VALU_DEP_3) | instskip(SKIP_2) | instid1(VALU_DEP_3)
	v_lshlrev_b32_e32 v2, 2, v7
	v_cndmask_b32_e64 v7, 0, 1, vcc_lo
	v_cmp_gt_i32_e32 vcc_lo, v6, v15
	v_add_nc_u64_e32 v[18:19], v[8:9], v[2:3]
	ds_load_b128 v[8:11], v12 offset:32
	v_lshlrev_b32_e32 v2, 2, v7
	v_cndmask_b32_e64 v7, 0, 1, vcc_lo
	v_cmp_gt_i32_e32 vcc_lo, v6, v16
	s_delay_alu instid0(VALU_DEP_3) | instskip(NEXT) | instid1(VALU_DEP_3)
	v_add_nc_u64_e32 v[14:15], v[18:19], v[2:3]
	v_lshlrev_b32_e32 v2, 2, v7
	v_cndmask_b32_e64 v7, 0, 1, vcc_lo
	v_cmp_gt_i32_e32 vcc_lo, v6, v17
	s_delay_alu instid0(VALU_DEP_3) | instskip(NEXT) | instid1(VALU_DEP_3)
	v_add_nc_u64_e32 v[14:15], v[14:15], v[2:3]
	v_lshlrev_b32_e32 v2, 2, v7
	v_cndmask_b32_e64 v7, 0, 1, vcc_lo
	s_delay_alu instid0(VALU_DEP_2)
	v_add_nc_u64_e32 v[18:19], v[14:15], v[2:3]
	ds_load_b128 v[14:17], v12 offset:48
	s_wait_dscnt 0x1
	v_cmp_gt_i32_e32 vcc_lo, v6, v8
	v_lshlrev_b32_e32 v2, 2, v7
	v_cndmask_b32_e64 v7, 0, 1, vcc_lo
	v_cmp_gt_i32_e32 vcc_lo, v6, v9
	s_delay_alu instid0(VALU_DEP_3) | instskip(NEXT) | instid1(VALU_DEP_3)
	v_add_nc_u64_e32 v[18:19], v[18:19], v[2:3]
	v_lshlrev_b32_e32 v2, 2, v7
	v_cndmask_b32_e64 v7, 0, 1, vcc_lo
	v_cmp_gt_i32_e32 vcc_lo, v6, v10
	s_delay_alu instid0(VALU_DEP_3) | instskip(NEXT) | instid1(VALU_DEP_3)
	v_add_nc_u64_e32 v[8:9], v[18:19], v[2:3]
	;; [unrolled: 5-line block ×3, first 2 shown]
	v_lshlrev_b32_e32 v2, 2, v7
	v_cndmask_b32_e64 v7, 0, 1, vcc_lo
	s_wait_dscnt 0x0
	v_cmp_gt_i32_e32 vcc_lo, v6, v14
	s_delay_alu instid0(VALU_DEP_3) | instskip(NEXT) | instid1(VALU_DEP_3)
	v_add_nc_u64_e32 v[8:9], v[8:9], v[2:3]
	v_lshlrev_b32_e32 v2, 2, v7
	v_cndmask_b32_e64 v7, 0, 1, vcc_lo
	v_cmp_gt_i32_e32 vcc_lo, v6, v15
	s_delay_alu instid0(VALU_DEP_3) | instskip(SKIP_4) | instid1(VALU_DEP_3)
	v_add_nc_u64_e32 v[18:19], v[8:9], v[2:3]
	ds_load_b128 v[8:11], v12 offset:64
	v_lshlrev_b32_e32 v2, 2, v7
	v_cndmask_b32_e64 v7, 0, 1, vcc_lo
	v_cmp_gt_i32_e32 vcc_lo, v6, v16
	v_add_nc_u64_e32 v[14:15], v[18:19], v[2:3]
	s_delay_alu instid0(VALU_DEP_3) | instskip(SKIP_2) | instid1(VALU_DEP_3)
	v_lshlrev_b32_e32 v2, 2, v7
	v_cndmask_b32_e64 v7, 0, 1, vcc_lo
	v_cmp_gt_i32_e32 vcc_lo, v6, v17
	v_add_nc_u64_e32 v[14:15], v[14:15], v[2:3]
	s_delay_alu instid0(VALU_DEP_3) | instskip(SKIP_1) | instid1(VALU_DEP_2)
	v_lshlrev_b32_e32 v2, 2, v7
	v_cndmask_b32_e64 v7, 0, 1, vcc_lo
	v_add_nc_u64_e32 v[18:19], v[14:15], v[2:3]
	ds_load_b128 v[14:17], v12 offset:80
	s_wait_dscnt 0x1
	v_cmp_gt_i32_e32 vcc_lo, v6, v8
	v_lshlrev_b32_e32 v2, 2, v7
	v_cndmask_b32_e64 v7, 0, 1, vcc_lo
	v_cmp_gt_i32_e32 vcc_lo, v6, v9
	s_delay_alu instid0(VALU_DEP_3) | instskip(NEXT) | instid1(VALU_DEP_3)
	v_add_nc_u64_e32 v[18:19], v[18:19], v[2:3]
	v_lshlrev_b32_e32 v2, 2, v7
	v_cndmask_b32_e64 v7, 0, 1, vcc_lo
	v_cmp_gt_i32_e32 vcc_lo, v6, v10
	s_delay_alu instid0(VALU_DEP_3) | instskip(NEXT) | instid1(VALU_DEP_3)
	v_add_nc_u64_e32 v[8:9], v[18:19], v[2:3]
	;; [unrolled: 5-line block ×3, first 2 shown]
	v_lshlrev_b32_e32 v2, 2, v7
	v_cndmask_b32_e64 v7, 0, 1, vcc_lo
	s_wait_dscnt 0x0
	v_cmp_gt_i32_e32 vcc_lo, v6, v14
	s_delay_alu instid0(VALU_DEP_3) | instskip(NEXT) | instid1(VALU_DEP_3)
	v_add_nc_u64_e32 v[8:9], v[8:9], v[2:3]
	v_lshlrev_b32_e32 v2, 2, v7
	v_cndmask_b32_e64 v7, 0, 1, vcc_lo
	v_cmp_gt_i32_e32 vcc_lo, v6, v15
	s_delay_alu instid0(VALU_DEP_3) | instskip(SKIP_4) | instid1(VALU_DEP_3)
	v_add_nc_u64_e32 v[18:19], v[8:9], v[2:3]
	ds_load_b128 v[8:11], v12 offset:96
	v_lshlrev_b32_e32 v2, 2, v7
	v_cndmask_b32_e64 v7, 0, 1, vcc_lo
	v_cmp_gt_i32_e32 vcc_lo, v6, v16
	v_add_nc_u64_e32 v[14:15], v[18:19], v[2:3]
	s_delay_alu instid0(VALU_DEP_3) | instskip(SKIP_2) | instid1(VALU_DEP_3)
	v_lshlrev_b32_e32 v2, 2, v7
	v_cndmask_b32_e64 v7, 0, 1, vcc_lo
	v_cmp_gt_i32_e32 vcc_lo, v6, v17
	v_add_nc_u64_e32 v[14:15], v[14:15], v[2:3]
	s_delay_alu instid0(VALU_DEP_3) | instskip(SKIP_1) | instid1(VALU_DEP_2)
	v_lshlrev_b32_e32 v2, 2, v7
	v_cndmask_b32_e64 v7, 0, 1, vcc_lo
	v_add_nc_u64_e32 v[18:19], v[14:15], v[2:3]
	ds_load_b128 v[14:17], v12 offset:112
	s_wait_dscnt 0x1
	v_cmp_gt_i32_e32 vcc_lo, v6, v8
	v_lshlrev_b32_e32 v2, 2, v7
	v_cndmask_b32_e64 v7, 0, 1, vcc_lo
	v_cmp_gt_i32_e32 vcc_lo, v6, v9
	s_delay_alu instid0(VALU_DEP_3) | instskip(NEXT) | instid1(VALU_DEP_3)
	v_add_nc_u64_e32 v[18:19], v[18:19], v[2:3]
	v_lshlrev_b32_e32 v2, 2, v7
	v_cndmask_b32_e64 v7, 0, 1, vcc_lo
	v_cmp_gt_i32_e32 vcc_lo, v6, v10
	s_delay_alu instid0(VALU_DEP_3) | instskip(NEXT) | instid1(VALU_DEP_3)
	v_add_nc_u64_e32 v[8:9], v[18:19], v[2:3]
	;; [unrolled: 5-line block ×3, first 2 shown]
	v_lshlrev_b32_e32 v2, 2, v7
	v_cndmask_b32_e64 v7, 0, 1, vcc_lo
	s_wait_dscnt 0x0
	v_cmp_gt_i32_e32 vcc_lo, v6, v14
	s_delay_alu instid0(VALU_DEP_3) | instskip(NEXT) | instid1(VALU_DEP_3)
	v_add_nc_u64_e32 v[8:9], v[8:9], v[2:3]
	v_lshlrev_b32_e32 v2, 2, v7
	v_cndmask_b32_e64 v7, 0, 1, vcc_lo
	v_cmp_gt_i32_e32 vcc_lo, v6, v15
	s_delay_alu instid0(VALU_DEP_3) | instskip(NEXT) | instid1(VALU_DEP_3)
	v_add_nc_u64_e32 v[8:9], v[8:9], v[2:3]
	v_lshlrev_b32_e32 v2, 2, v7
	v_cndmask_b32_e64 v7, 0, 1, vcc_lo
	;; [unrolled: 5-line block ×4, first 2 shown]
	s_delay_alu instid0(VALU_DEP_2) | instskip(NEXT) | instid1(VALU_DEP_2)
	v_add_nc_u64_e32 v[8:9], v[8:9], v[2:3]
	v_lshlrev_b32_e32 v2, 2, v7
	s_delay_alu instid0(VALU_DEP_1)
	v_add_nc_u64_e32 v[8:9], v[8:9], v[2:3]
	v_add_nc_u32_e32 v2, s6, v6
	global_store_b32 v[8:9], v2, off
	s_branch .LBB27_33
.LBB27_36:
	s_endpgm
	.section	.rodata,"a",@progbits
	.p2align	6, 0x0
	.amdhsa_kernel _ZN9rocsparseL32csrgemm_symbolic_fill_wf_per_rowILj256ELj16ELj32ELj137EliEEvT4_S1_PKS1_S3_PKT3_S3_S6_S3_S6_S3_S6_PS1_21rocsparse_index_base_S8_S8_S8_bb
		.amdhsa_group_segment_fixed_size 2048
		.amdhsa_private_segment_fixed_size 0
		.amdhsa_kernarg_size 108
		.amdhsa_user_sgpr_count 2
		.amdhsa_user_sgpr_dispatch_ptr 0
		.amdhsa_user_sgpr_queue_ptr 0
		.amdhsa_user_sgpr_kernarg_segment_ptr 1
		.amdhsa_user_sgpr_dispatch_id 0
		.amdhsa_user_sgpr_kernarg_preload_length 0
		.amdhsa_user_sgpr_kernarg_preload_offset 0
		.amdhsa_user_sgpr_private_segment_size 0
		.amdhsa_wavefront_size32 1
		.amdhsa_uses_dynamic_stack 0
		.amdhsa_enable_private_segment 0
		.amdhsa_system_sgpr_workgroup_id_x 1
		.amdhsa_system_sgpr_workgroup_id_y 0
		.amdhsa_system_sgpr_workgroup_id_z 0
		.amdhsa_system_sgpr_workgroup_info 0
		.amdhsa_system_vgpr_workitem_id 0
		.amdhsa_next_free_vgpr 20
		.amdhsa_next_free_sgpr 25
		.amdhsa_named_barrier_count 0
		.amdhsa_reserve_vcc 1
		.amdhsa_float_round_mode_32 0
		.amdhsa_float_round_mode_16_64 0
		.amdhsa_float_denorm_mode_32 3
		.amdhsa_float_denorm_mode_16_64 3
		.amdhsa_fp16_overflow 0
		.amdhsa_memory_ordered 1
		.amdhsa_forward_progress 1
		.amdhsa_inst_pref_size 17
		.amdhsa_round_robin_scheduling 0
		.amdhsa_exception_fp_ieee_invalid_op 0
		.amdhsa_exception_fp_denorm_src 0
		.amdhsa_exception_fp_ieee_div_zero 0
		.amdhsa_exception_fp_ieee_overflow 0
		.amdhsa_exception_fp_ieee_underflow 0
		.amdhsa_exception_fp_ieee_inexact 0
		.amdhsa_exception_int_div_zero 0
	.end_amdhsa_kernel
	.section	.text._ZN9rocsparseL32csrgemm_symbolic_fill_wf_per_rowILj256ELj16ELj32ELj137EliEEvT4_S1_PKS1_S3_PKT3_S3_S6_S3_S6_S3_S6_PS1_21rocsparse_index_base_S8_S8_S8_bb,"axG",@progbits,_ZN9rocsparseL32csrgemm_symbolic_fill_wf_per_rowILj256ELj16ELj32ELj137EliEEvT4_S1_PKS1_S3_PKT3_S3_S6_S3_S6_S3_S6_PS1_21rocsparse_index_base_S8_S8_S8_bb,comdat
.Lfunc_end27:
	.size	_ZN9rocsparseL32csrgemm_symbolic_fill_wf_per_rowILj256ELj16ELj32ELj137EliEEvT4_S1_PKS1_S3_PKT3_S3_S6_S3_S6_S3_S6_PS1_21rocsparse_index_base_S8_S8_S8_bb, .Lfunc_end27-_ZN9rocsparseL32csrgemm_symbolic_fill_wf_per_rowILj256ELj16ELj32ELj137EliEEvT4_S1_PKS1_S3_PKT3_S3_S6_S3_S6_S3_S6_PS1_21rocsparse_index_base_S8_S8_S8_bb
                                        ; -- End function
	.set _ZN9rocsparseL32csrgemm_symbolic_fill_wf_per_rowILj256ELj16ELj32ELj137EliEEvT4_S1_PKS1_S3_PKT3_S3_S6_S3_S6_S3_S6_PS1_21rocsparse_index_base_S8_S8_S8_bb.num_vgpr, 20
	.set _ZN9rocsparseL32csrgemm_symbolic_fill_wf_per_rowILj256ELj16ELj32ELj137EliEEvT4_S1_PKS1_S3_PKT3_S3_S6_S3_S6_S3_S6_PS1_21rocsparse_index_base_S8_S8_S8_bb.num_agpr, 0
	.set _ZN9rocsparseL32csrgemm_symbolic_fill_wf_per_rowILj256ELj16ELj32ELj137EliEEvT4_S1_PKS1_S3_PKT3_S3_S6_S3_S6_S3_S6_PS1_21rocsparse_index_base_S8_S8_S8_bb.numbered_sgpr, 25
	.set _ZN9rocsparseL32csrgemm_symbolic_fill_wf_per_rowILj256ELj16ELj32ELj137EliEEvT4_S1_PKS1_S3_PKT3_S3_S6_S3_S6_S3_S6_PS1_21rocsparse_index_base_S8_S8_S8_bb.num_named_barrier, 0
	.set _ZN9rocsparseL32csrgemm_symbolic_fill_wf_per_rowILj256ELj16ELj32ELj137EliEEvT4_S1_PKS1_S3_PKT3_S3_S6_S3_S6_S3_S6_PS1_21rocsparse_index_base_S8_S8_S8_bb.private_seg_size, 0
	.set _ZN9rocsparseL32csrgemm_symbolic_fill_wf_per_rowILj256ELj16ELj32ELj137EliEEvT4_S1_PKS1_S3_PKT3_S3_S6_S3_S6_S3_S6_PS1_21rocsparse_index_base_S8_S8_S8_bb.uses_vcc, 1
	.set _ZN9rocsparseL32csrgemm_symbolic_fill_wf_per_rowILj256ELj16ELj32ELj137EliEEvT4_S1_PKS1_S3_PKT3_S3_S6_S3_S6_S3_S6_PS1_21rocsparse_index_base_S8_S8_S8_bb.uses_flat_scratch, 0
	.set _ZN9rocsparseL32csrgemm_symbolic_fill_wf_per_rowILj256ELj16ELj32ELj137EliEEvT4_S1_PKS1_S3_PKT3_S3_S6_S3_S6_S3_S6_PS1_21rocsparse_index_base_S8_S8_S8_bb.has_dyn_sized_stack, 0
	.set _ZN9rocsparseL32csrgemm_symbolic_fill_wf_per_rowILj256ELj16ELj32ELj137EliEEvT4_S1_PKS1_S3_PKT3_S3_S6_S3_S6_S3_S6_PS1_21rocsparse_index_base_S8_S8_S8_bb.has_recursion, 0
	.set _ZN9rocsparseL32csrgemm_symbolic_fill_wf_per_rowILj256ELj16ELj32ELj137EliEEvT4_S1_PKS1_S3_PKT3_S3_S6_S3_S6_S3_S6_PS1_21rocsparse_index_base_S8_S8_S8_bb.has_indirect_call, 0
	.section	.AMDGPU.csdata,"",@progbits
; Kernel info:
; codeLenInByte = 2152
; TotalNumSgprs: 27
; NumVgprs: 20
; ScratchSize: 0
; MemoryBound: 0
; FloatMode: 240
; IeeeMode: 1
; LDSByteSize: 2048 bytes/workgroup (compile time only)
; SGPRBlocks: 0
; VGPRBlocks: 1
; NumSGPRsForWavesPerEU: 27
; NumVGPRsForWavesPerEU: 20
; NamedBarCnt: 0
; Occupancy: 16
; WaveLimiterHint : 1
; COMPUTE_PGM_RSRC2:SCRATCH_EN: 0
; COMPUTE_PGM_RSRC2:USER_SGPR: 2
; COMPUTE_PGM_RSRC2:TRAP_HANDLER: 0
; COMPUTE_PGM_RSRC2:TGID_X_EN: 1
; COMPUTE_PGM_RSRC2:TGID_Y_EN: 0
; COMPUTE_PGM_RSRC2:TGID_Z_EN: 0
; COMPUTE_PGM_RSRC2:TIDIG_COMP_CNT: 0
	.section	.text._ZN9rocsparseL35csrgemm_symbolic_fill_block_per_rowILj128ELj16ELj256ELj137ELj32EliEEvT5_PKS1_S3_PKT4_S3_S6_S3_S6_S3_S6_PS1_21rocsparse_index_base_S8_S8_S8_bb,"axG",@progbits,_ZN9rocsparseL35csrgemm_symbolic_fill_block_per_rowILj128ELj16ELj256ELj137ELj32EliEEvT5_PKS1_S3_PKT4_S3_S6_S3_S6_S3_S6_PS1_21rocsparse_index_base_S8_S8_S8_bb,comdat
	.globl	_ZN9rocsparseL35csrgemm_symbolic_fill_block_per_rowILj128ELj16ELj256ELj137ELj32EliEEvT5_PKS1_S3_PKT4_S3_S6_S3_S6_S3_S6_PS1_21rocsparse_index_base_S8_S8_S8_bb ; -- Begin function _ZN9rocsparseL35csrgemm_symbolic_fill_block_per_rowILj128ELj16ELj256ELj137ELj32EliEEvT5_PKS1_S3_PKT4_S3_S6_S3_S6_S3_S6_PS1_21rocsparse_index_base_S8_S8_S8_bb
	.p2align	8
	.type	_ZN9rocsparseL35csrgemm_symbolic_fill_block_per_rowILj128ELj16ELj256ELj137ELj32EliEEvT5_PKS1_S3_PKT4_S3_S6_S3_S6_S3_S6_PS1_21rocsparse_index_base_S8_S8_S8_bb,@function
_ZN9rocsparseL35csrgemm_symbolic_fill_block_per_rowILj128ELj16ELj256ELj137ELj32EliEEvT5_PKS1_S3_PKT4_S3_S6_S3_S6_S3_S6_PS1_21rocsparse_index_base_S8_S8_S8_bb: ; @_ZN9rocsparseL35csrgemm_symbolic_fill_block_per_rowILj128ELj16ELj256ELj137ELj32EliEEvT5_PKS1_S3_PKT4_S3_S6_S3_S6_S3_S6_PS1_21rocsparse_index_base_S8_S8_S8_bb
; %bb.0:
	s_clause 0x1
	s_load_b32 s28, s[0:1], 0x0
	s_load_b128 s[24:27], s[0:1], 0x8
	v_cmp_gt_u32_e32 vcc_lo, 0x100, v0
	v_lshl_add_u32 v10, v0, 2, 0
	s_and_saveexec_b32 s4, vcc_lo
	s_cbranch_execz .LBB28_7
; %bb.1:
	v_lshl_add_u32 v1, v0, 2, 0
	s_mov_b32 s5, 0
	s_mov_b32 s2, 0
	s_branch .LBB28_3
.LBB28_2:                               ;   in Loop: Header=BB28_3 Depth=1
	s_or_b32 exec_lo, exec_lo, s6
	s_add_co_i32 s2, s2, 2
	v_add_nc_u32_e32 v1, 0x400, v1
	v_cmp_eq_u32_e64 s3, 2, s2
	s_or_b32 s5, s3, s5
	s_delay_alu instid0(SALU_CYCLE_1)
	s_and_not1_b32 exec_lo, exec_lo, s5
	s_cbranch_execz .LBB28_7
.LBB28_3:                               ; =>This Inner Loop Header: Depth=1
	s_mov_b32 s3, s2
	s_delay_alu instid0(SALU_CYCLE_1) | instskip(NEXT) | instid1(SALU_CYCLE_1)
	s_or_b64 s[6:7], s[2:3], 0x100000000
	v_cmp_le_u32_e64 s3, s7, 1
	v_cmp_le_u32_e64 s7, s6, 1
	s_and_saveexec_b32 s6, s7
	s_cbranch_execz .LBB28_5
; %bb.4:                                ;   in Loop: Header=BB28_3 Depth=1
	s_wait_kmcnt 0x0
	v_mov_b32_e32 v2, s28
	ds_store_b32 v1, v2
.LBB28_5:                               ;   in Loop: Header=BB28_3 Depth=1
	s_or_b32 exec_lo, exec_lo, s6
	s_and_saveexec_b32 s6, s3
	s_cbranch_execz .LBB28_2
; %bb.6:                                ;   in Loop: Header=BB28_3 Depth=1
	s_wait_kmcnt 0x0
	v_mov_b32_e32 v2, s28
	ds_store_b32 v1, v2 offset:512
	s_branch .LBB28_2
.LBB28_7:
	s_or_b32 exec_lo, exec_lo, s4
	s_clause 0x1
	s_load_b256 s[4:11], s[0:1], 0x38
	s_load_b256 s[12:19], s[0:1], 0x18
	s_wait_dscnt 0x0
	s_barrier_signal -1
	s_barrier_wait -1
	s_wait_kmcnt 0x0
	s_load_b32 s2, s[24:25], 0x0
	s_bfe_u32 s3, ttmp6, 0x4000c
	s_and_b32 s20, ttmp6, 15
	s_add_co_i32 s3, s3, 1
	s_getreg_b32 s21, hwreg(HW_REG_IB_STS2, 6, 4)
	s_mul_i32 s3, ttmp9, s3
	s_load_b32 s29, s[0:1], 0x68
	s_add_co_i32 s20, s20, s3
	s_cmp_eq_u32 s21, 0
	s_cselect_b32 s3, ttmp9, s20
	s_wait_kmcnt 0x0
	s_add_co_i32 s2, s2, s3
	s_load_b128 s[20:23], s[0:1], 0x58
	s_load_b32 s24, s[26:27], s2 offset:0x0 scale_offset
	s_wait_xcnt 0x0
	s_mov_b32 s1, 0
	s_bitcmp0_b32 s29, 0
	s_cbranch_scc1 .LBB28_23
; %bb.8:
	s_wait_kmcnt 0x0
	s_ashr_i32 s25, s24, 31
	v_dual_mov_b32 v5, 0 :: v_dual_lshrrev_b32 v4, 4, v0
	s_lshl_b64 s[2:3], s[24:25], 3
	s_mov_b32 s0, s20
	s_add_nc_u64 s[2:3], s[12:13], s[2:3]
	s_load_b128 s[36:39], s[2:3], 0x0
	v_sub_nc_u64_e64 v[2:3], v[4:5], s[0:1]
	s_wait_kmcnt 0x0
	s_delay_alu instid0(VALU_DEP_1) | instskip(SKIP_2) | instid1(VALU_DEP_1)
	v_add_nc_u64_e32 v[2:3], s[36:37], v[2:3]
	s_sub_nc_u64 s[2:3], s[38:39], s[0:1]
	s_mov_b32 s1, exec_lo
	v_cmpx_gt_i64_e64 s[2:3], v[2:3]
	s_cbranch_execz .LBB28_22
; %bb.9:
	v_and_b32_e32 v4, 15, v0
	s_mov_b32 s13, 0
	s_mov_b32 s12, s21
	;; [unrolled: 1-line block ×3, first 2 shown]
	s_delay_alu instid0(VALU_DEP_1)
	v_sub_nc_u64_e64 v[4:5], v[4:5], s[12:13]
	s_branch .LBB28_11
.LBB28_10:                              ;   in Loop: Header=BB28_11 Depth=1
	s_or_b32 exec_lo, exec_lo, s26
	v_add_nc_u64_e32 v[2:3], 8, v[2:3]
	s_delay_alu instid0(VALU_DEP_1) | instskip(SKIP_1) | instid1(SALU_CYCLE_1)
	v_cmp_le_i64_e64 s0, s[2:3], v[2:3]
	s_or_b32 s25, s0, s25
	s_and_not1_b32 exec_lo, exec_lo, s25
	s_cbranch_execz .LBB28_22
.LBB28_11:                              ; =>This Loop Header: Depth=1
                                        ;     Child Loop BB28_14 Depth 2
                                        ;       Child Loop BB28_17 Depth 3
	v_lshl_add_u64 v[6:7], v[2:3], 2, s[14:15]
	s_mov_b32 s26, exec_lo
	global_load_b32 v1, v[6:7], off
	s_wait_loadcnt 0x0
	v_subrev_nc_u32_e32 v6, s20, v1
	s_delay_alu instid0(VALU_DEP_1) | instskip(NEXT) | instid1(VALU_DEP_1)
	v_ashrrev_i32_e32 v7, 31, v6
	v_lshl_add_u64 v[6:7], v[6:7], 3, s[16:17]
	global_load_b128 v[12:15], v[6:7], off
	s_wait_loadcnt 0x0
	v_sub_nc_u64_e64 v[6:7], v[14:15], s[12:13]
	v_add_nc_u64_e32 v[8:9], v[12:13], v[4:5]
	s_delay_alu instid0(VALU_DEP_1)
	v_cmpx_lt_i64_e64 v[8:9], v[6:7]
	s_cbranch_execz .LBB28_10
; %bb.12:                               ;   in Loop: Header=BB28_11 Depth=1
	s_mov_b32 s27, 0
	s_branch .LBB28_14
.LBB28_13:                              ;   in Loop: Header=BB28_14 Depth=2
	s_or_b32 exec_lo, exec_lo, s30
	v_add_nc_u64_e32 v[8:9], 16, v[8:9]
	s_delay_alu instid0(VALU_DEP_1) | instskip(SKIP_1) | instid1(SALU_CYCLE_1)
	v_cmp_ge_i64_e64 s0, v[8:9], v[6:7]
	s_or_b32 s27, s0, s27
	s_and_not1_b32 exec_lo, exec_lo, s27
	s_cbranch_execz .LBB28_10
.LBB28_14:                              ;   Parent Loop BB28_11 Depth=1
                                        ; =>  This Loop Header: Depth=2
                                        ;       Child Loop BB28_17 Depth 3
	v_lshl_add_u64 v[12:13], v[8:9], 2, s[18:19]
	s_mov_b32 s30, 0
                                        ; implicit-def: $sgpr31
	global_load_b32 v1, v[12:13], off
	s_wait_loadcnt 0x0
	v_subrev_nc_u32_e32 v1, s21, v1
	s_delay_alu instid0(VALU_DEP_1) | instskip(NEXT) | instid1(VALU_DEP_1)
	v_mul_lo_u32 v11, 0x89, v1
	v_and_b32_e32 v11, 0xff, v11
	s_branch .LBB28_17
.LBB28_15:                              ;   in Loop: Header=BB28_17 Depth=3
	s_or_b32 exec_lo, exec_lo, s34
	s_delay_alu instid0(SALU_CYCLE_1) | instskip(SKIP_1) | instid1(SALU_CYCLE_1)
	s_and_not1_b32 s31, s31, exec_lo
	s_and_b32 s0, s0, exec_lo
	s_or_b32 s31, s31, s0
.LBB28_16:                              ;   in Loop: Header=BB28_17 Depth=3
	s_or_b32 exec_lo, exec_lo, s33
	s_xor_b32 s0, s31, -1
	s_delay_alu instid0(SALU_CYCLE_1) | instskip(NEXT) | instid1(SALU_CYCLE_1)
	s_and_b32 s0, exec_lo, s0
	s_or_b32 s30, s0, s30
	s_delay_alu instid0(SALU_CYCLE_1)
	s_and_not1_b32 exec_lo, exec_lo, s30
	s_cbranch_execz .LBB28_13
.LBB28_17:                              ;   Parent Loop BB28_11 Depth=1
                                        ;     Parent Loop BB28_14 Depth=2
                                        ; =>    This Inner Loop Header: Depth=3
	s_delay_alu instid0(VALU_DEP_1)
	v_lshl_add_u32 v12, v11, 2, 0
	s_and_not1_b32 s31, s31, exec_lo
	s_mov_b32 s33, exec_lo
	ds_load_b32 v13, v12
	s_wait_dscnt 0x0
	v_cmpx_ne_u32_e64 v13, v1
	s_cbranch_execz .LBB28_16
; %bb.18:                               ;   in Loop: Header=BB28_17 Depth=3
	v_cmp_ne_u32_e64 s0, s28, v13
	s_and_saveexec_b32 s34, s0
	s_delay_alu instid0(SALU_CYCLE_1)
	s_xor_b32 s0, exec_lo, s34
; %bb.19:                               ;   in Loop: Header=BB28_17 Depth=3
	v_add_nc_u32_e32 v11, 1, v11
                                        ; implicit-def: $vgpr12
	s_delay_alu instid0(VALU_DEP_1)
	v_and_b32_e32 v11, 0xff, v11
; %bb.20:                               ;   in Loop: Header=BB28_17 Depth=3
	s_or_saveexec_b32 s34, s0
	s_mov_b32 s0, -1
	s_xor_b32 exec_lo, exec_lo, s34
	s_cbranch_execz .LBB28_15
; %bb.21:                               ;   in Loop: Header=BB28_17 Depth=3
	v_mov_b32_e32 v13, s28
	ds_cmpstore_rtn_b32 v12, v12, v1, v13
	s_wait_dscnt 0x0
	v_cmp_ne_u32_e64 s0, s28, v12
	s_or_not1_b32 s0, s0, exec_lo
	s_branch .LBB28_15
.LBB28_22:
	s_or_b32 exec_lo, exec_lo, s1
.LBB28_23:
	s_bfe_u32 s0, s29, 0x10008
	s_delay_alu instid0(SALU_CYCLE_1)
	s_cmp_eq_u32 s0, 0
	s_cbranch_scc1 .LBB28_26
; %bb.24:
	s_wait_kmcnt 0x0
	s_ashr_i32 s25, s24, 31
	v_mov_b32_e32 v1, 0
	s_lshl_b64 s[0:1], s[24:25], 3
	s_delay_alu instid0(SALU_CYCLE_1)
	s_add_nc_u64 s[0:1], s[4:5], s[0:1]
	s_mov_b32 s4, exec_lo
	s_load_b128 s[12:15], s[0:1], 0x0
	s_wait_xcnt 0x0
	s_mov_b32 s1, 0
	s_mov_b32 s0, s23
	s_delay_alu instid0(SALU_CYCLE_1) | instskip(SKIP_1) | instid1(VALU_DEP_1)
	v_sub_nc_u64_e64 v[2:3], v[0:1], s[0:1]
	s_wait_kmcnt 0x0
	v_add_nc_u64_e32 v[2:3], s[12:13], v[2:3]
	s_sub_nc_u64 s[2:3], s[14:15], s[0:1]
	s_delay_alu instid0(VALU_DEP_1) | instid1(SALU_CYCLE_1)
	v_cmpx_gt_i64_e64 s[2:3], v[2:3]
	s_cbranch_execnz .LBB28_40
.LBB28_25:
	s_or_b32 exec_lo, exec_lo, s4
.LBB28_26:
	s_barrier_signal -1
	s_barrier_wait -1
	s_and_saveexec_b32 s4, vcc_lo
	s_cbranch_execz .LBB28_48
; %bb.27:
	v_mbcnt_lo_u32_b32 v2, -1, 0
	v_dual_lshrrev_b32 v3, 3, v0 :: v_dual_mov_b32 v1, 0
	v_cmp_lt_u32_e64 s0, 31, v0
	v_cmp_lt_u32_e64 s1, 63, v0
	s_delay_alu instid0(VALU_DEP_3)
	v_dual_mov_b32 v5, 0 :: v_dual_bitop2_b32 v3, 12, v3 bitop3:0x40
	v_xor_b32_e32 v2, 31, v2
	v_cmp_lt_u32_e64 s2, 0x5f, v0
	v_or_b32_e32 v4, 0xffffff80, v0
	s_mov_b32 s5, 0
	v_add_nc_u32_e32 v3, 0, v3
	v_lshrrev_b32_e64 v2, v2, -1
	v_cmp_eq_u32_e32 vcc_lo, 0x7f, v0
	s_branch .LBB28_29
.LBB28_28:                              ;   in Loop: Header=BB28_29 Depth=1
	s_or_b32 exec_lo, exec_lo, s3
	s_wait_dscnt 0x0
	s_barrier_signal -1
	s_barrier_wait -1
	ds_load_b32 v6, v1 offset:1036
	v_add_co_u32 v4, s3, 0x80, v4
	s_xor_b32 s3, s3, -1
	v_add_nc_u32_e32 v10, 0x200, v10
	s_and_b32 s3, exec_lo, s3
	s_delay_alu instid0(SALU_CYCLE_1)
	s_or_b32 s5, s3, s5
	s_wait_dscnt 0x0
	v_add_nc_u32_e32 v5, v6, v5
	s_and_not1_b32 exec_lo, exec_lo, s5
	s_cbranch_execz .LBB28_48
.LBB28_29:                              ; =>This Inner Loop Header: Depth=1
	ds_load_b32 v6, v10
	s_wait_dscnt 0x0
	s_barrier_signal -1
	s_barrier_wait -1
	v_cmp_gt_i32_e64 s3, s28, v6
	s_bcnt1_i32_b32 s6, s3
	s_delay_alu instid0(SALU_CYCLE_1) | instskip(NEXT) | instid1(VALU_DEP_1)
	v_dual_mov_b32 v8, s6 :: v_dual_bitop2_b32 v7, s3, v2 bitop3:0x40
	v_bcnt_u32_b32 v7, v7, 0
	ds_store_b32 v3, v8 offset:1024
	s_wait_dscnt 0x0
	s_barrier_signal -1
	s_barrier_wait -1
	s_and_saveexec_b32 s6, s0
	s_cbranch_execnz .LBB28_34
; %bb.30:                               ;   in Loop: Header=BB28_29 Depth=1
	s_or_b32 exec_lo, exec_lo, s6
	s_and_saveexec_b32 s6, s1
	s_cbranch_execnz .LBB28_35
.LBB28_31:                              ;   in Loop: Header=BB28_29 Depth=1
	s_or_b32 exec_lo, exec_lo, s6
	s_and_saveexec_b32 s6, s2
	s_cbranch_execnz .LBB28_36
.LBB28_32:                              ;   in Loop: Header=BB28_29 Depth=1
	s_or_b32 exec_lo, exec_lo, s6
	s_and_saveexec_b32 s6, s3
	s_cbranch_execnz .LBB28_37
.LBB28_33:                              ;   in Loop: Header=BB28_29 Depth=1
	s_or_b32 exec_lo, exec_lo, s6
	s_and_saveexec_b32 s3, vcc_lo
	s_cbranch_execz .LBB28_28
	s_branch .LBB28_38
.LBB28_34:                              ;   in Loop: Header=BB28_29 Depth=1
	ds_load_b32 v8, v1 offset:1024
	s_wait_dscnt 0x0
	v_add_nc_u32_e32 v7, v8, v7
	s_or_b32 exec_lo, exec_lo, s6
	s_and_saveexec_b32 s6, s1
	s_cbranch_execz .LBB28_31
.LBB28_35:                              ;   in Loop: Header=BB28_29 Depth=1
	ds_load_b32 v8, v1 offset:1028
	s_wait_dscnt 0x0
	v_add_nc_u32_e32 v7, v8, v7
	s_or_b32 exec_lo, exec_lo, s6
	s_and_saveexec_b32 s6, s2
	s_cbranch_execz .LBB28_32
.LBB28_36:                              ;   in Loop: Header=BB28_29 Depth=1
	ds_load_b32 v8, v1 offset:1032
	s_wait_dscnt 0x0
	v_add_nc_u32_e32 v7, v8, v7
	s_or_b32 exec_lo, exec_lo, s6
	s_and_saveexec_b32 s6, s3
	s_cbranch_execz .LBB28_33
.LBB28_37:                              ;   in Loop: Header=BB28_29 Depth=1
	s_delay_alu instid0(VALU_DEP_1) | instskip(NEXT) | instid1(VALU_DEP_1)
	v_dual_lshlrev_b32 v8, 2, v5 :: v_dual_lshlrev_b32 v9, 2, v7
	v_add_nc_u32_e32 v8, 0, v8
	s_delay_alu instid0(VALU_DEP_1)
	v_add3_u32 v8, v8, v9, -4
	ds_store_b32 v8, v6
	s_or_b32 exec_lo, exec_lo, s6
	s_and_saveexec_b32 s3, vcc_lo
	s_cbranch_execz .LBB28_28
.LBB28_38:                              ;   in Loop: Header=BB28_29 Depth=1
	ds_store_b32 v1, v7 offset:1036
	s_branch .LBB28_28
.LBB28_39:                              ;   in Loop: Header=BB28_40 Depth=1
	s_or_b32 exec_lo, exec_lo, s5
	v_add_nc_u64_e32 v[2:3], 0x80, v[2:3]
	s_delay_alu instid0(VALU_DEP_1) | instskip(SKIP_1) | instid1(SALU_CYCLE_1)
	v_cmp_le_i64_e64 s0, s[2:3], v[2:3]
	s_or_b32 s1, s0, s1
	s_and_not1_b32 exec_lo, exec_lo, s1
	s_cbranch_execz .LBB28_25
.LBB28_40:                              ; =>This Loop Header: Depth=1
                                        ;     Child Loop BB28_43 Depth 2
	v_lshl_add_u64 v[4:5], v[2:3], 2, s[6:7]
	s_mov_b32 s5, 0
                                        ; implicit-def: $sgpr12
	global_load_b32 v1, v[4:5], off
	s_wait_loadcnt 0x0
	v_subrev_nc_u32_e32 v1, s23, v1
	s_delay_alu instid0(VALU_DEP_1) | instskip(NEXT) | instid1(VALU_DEP_1)
	v_mul_lo_u32 v4, 0x89, v1
	v_and_b32_e32 v4, 0xff, v4
	s_branch .LBB28_43
.LBB28_41:                              ;   in Loop: Header=BB28_43 Depth=2
	s_or_b32 exec_lo, exec_lo, s14
	s_delay_alu instid0(SALU_CYCLE_1) | instskip(SKIP_1) | instid1(SALU_CYCLE_1)
	s_and_not1_b32 s12, s12, exec_lo
	s_and_b32 s0, s0, exec_lo
	s_or_b32 s12, s12, s0
.LBB28_42:                              ;   in Loop: Header=BB28_43 Depth=2
	s_or_b32 exec_lo, exec_lo, s13
	s_xor_b32 s0, s12, -1
	s_delay_alu instid0(SALU_CYCLE_1) | instskip(NEXT) | instid1(SALU_CYCLE_1)
	s_and_b32 s0, exec_lo, s0
	s_or_b32 s5, s0, s5
	s_delay_alu instid0(SALU_CYCLE_1)
	s_and_not1_b32 exec_lo, exec_lo, s5
	s_cbranch_execz .LBB28_39
.LBB28_43:                              ;   Parent Loop BB28_40 Depth=1
                                        ; =>  This Inner Loop Header: Depth=2
	s_delay_alu instid0(VALU_DEP_1)
	v_lshl_add_u32 v5, v4, 2, 0
	s_and_not1_b32 s12, s12, exec_lo
	s_mov_b32 s13, exec_lo
	ds_load_b32 v6, v5
	s_wait_dscnt 0x0
	v_cmpx_ne_u32_e64 v6, v1
	s_cbranch_execz .LBB28_42
; %bb.44:                               ;   in Loop: Header=BB28_43 Depth=2
	v_cmp_ne_u32_e64 s0, s28, v6
	s_and_saveexec_b32 s14, s0
	s_delay_alu instid0(SALU_CYCLE_1)
	s_xor_b32 s0, exec_lo, s14
; %bb.45:                               ;   in Loop: Header=BB28_43 Depth=2
	v_add_nc_u32_e32 v4, 1, v4
                                        ; implicit-def: $vgpr5
	s_delay_alu instid0(VALU_DEP_1)
	v_and_b32_e32 v4, 0xff, v4
; %bb.46:                               ;   in Loop: Header=BB28_43 Depth=2
	s_or_saveexec_b32 s14, s0
	s_mov_b32 s0, -1
	s_xor_b32 exec_lo, exec_lo, s14
	s_cbranch_execz .LBB28_41
; %bb.47:                               ;   in Loop: Header=BB28_43 Depth=2
	v_mov_b32_e32 v6, s28
	ds_cmpstore_rtn_b32 v5, v5, v1, v6
	s_wait_dscnt 0x0
	v_cmp_ne_u32_e64 s0, s28, v5
	s_or_not1_b32 s0, s0, exec_lo
	s_branch .LBB28_41
.LBB28_48:
	s_or_b32 exec_lo, exec_lo, s4
	s_wait_kmcnt 0x0
	s_ashr_i32 s25, s24, 31
	s_delay_alu instid0(SALU_CYCLE_1) | instskip(NEXT) | instid1(SALU_CYCLE_1)
	s_lshl_b64 s[0:1], s[24:25], 3
	s_add_nc_u64 s[4:5], s[8:9], s[0:1]
	s_load_b128 s[0:3], s[4:5], 0x0
	s_wait_xcnt 0x0
	s_mov_b32 s4, exec_lo
	s_wait_kmcnt 0x0
	s_sub_co_i32 s3, s2, s0
	s_delay_alu instid0(SALU_CYCLE_1)
	v_cmpx_gt_i32_e64 s3, v0
	s_cbranch_execz .LBB28_58
; %bb.49:
	s_sub_co_i32 s4, s0, s2
	s_and_b32 s2, s3, 7
	s_cmp_lt_u32 s4, -7
	s_mov_b32 s23, 0
	s_cselect_b32 s4, -1, 0
	s_and_b32 s5, s3, -8
	s_cmp_lg_u32 s2, 0
	s_sub_nc_u64 s[0:1], s[0:1], s[22:23]
	s_cselect_b32 s6, -1, 0
	s_mov_b32 s7, 0
	s_branch .LBB28_51
.LBB28_50:                              ;   in Loop: Header=BB28_51 Depth=1
	v_add_nc_u32_e32 v0, 0x80, v0
	s_wait_dscnt 0x0
	v_add_nc_u32_e32 v1, s22, v1
	s_delay_alu instid0(VALU_DEP_3) | instskip(NEXT) | instid1(VALU_DEP_3)
	v_lshl_add_u64 v[2:3], v[2:3], 2, s[10:11]
	v_cmp_le_i32_e32 vcc_lo, s3, v0
	global_store_b32 v[2:3], v1, off
	s_or_b32 s7, vcc_lo, s7
	s_wait_xcnt 0x0
	s_and_not1_b32 exec_lo, exec_lo, s7
	s_cbranch_execz .LBB28_58
.LBB28_51:                              ; =>This Loop Header: Depth=1
                                        ;     Child Loop BB28_53 Depth 2
                                        ;     Child Loop BB28_57 Depth 2
	v_lshl_add_u32 v1, v0, 2, 0
	v_mov_b64_e32 v[2:3], s[0:1]
	s_and_not1_b32 vcc_lo, exec_lo, s4
	s_mov_b32 s8, 0
	ds_load_b32 v1, v1
	s_cbranch_vccnz .LBB28_55
; %bb.52:                               ;   in Loop: Header=BB28_51 Depth=1
	v_mov_b64_e32 v[2:3], s[0:1]
	s_mov_b32 s9, 0
.LBB28_53:                              ;   Parent Loop BB28_51 Depth=1
                                        ; =>  This Inner Loop Header: Depth=2
	s_delay_alu instid0(SALU_CYCLE_1)
	v_dual_mov_b32 v8, s9 :: v_dual_mov_b32 v9, s23
	v_mov_b32_e32 v15, s23
	s_add_co_i32 s8, s8, 8
	s_add_co_i32 s9, s9, 32
	ds_load_2addr_b32 v[4:5], v8 offset1:1
	ds_load_2addr_b32 v[6:7], v8 offset0:2 offset1:3
	ds_load_2addr_b32 v[10:11], v8 offset0:4 offset1:5
	;; [unrolled: 1-line block ×3, first 2 shown]
	s_cmp_eq_u32 s5, s8
	s_wait_dscnt 0x3
	v_cmp_gt_i32_e32 vcc_lo, v1, v4
	v_cndmask_b32_e64 v8, 0, 1, vcc_lo
	v_cmp_gt_i32_e32 vcc_lo, v1, v5
	v_mov_b32_e32 v5, s23
	s_delay_alu instid0(VALU_DEP_3) | instskip(SKIP_4) | instid1(VALU_DEP_3)
	v_add_nc_u64_e32 v[2:3], v[2:3], v[8:9]
	v_cndmask_b32_e64 v14, 0, 1, vcc_lo
	s_wait_dscnt 0x2
	v_cmp_gt_i32_e32 vcc_lo, v1, v6
	v_cndmask_b32_e64 v4, 0, 1, vcc_lo
	v_add_nc_u64_e32 v[2:3], v[2:3], v[14:15]
	v_cmp_gt_i32_e32 vcc_lo, v1, v7
	v_mov_b32_e32 v7, s23
	v_cndmask_b32_e64 v8, 0, 1, vcc_lo
	s_delay_alu instid0(VALU_DEP_4) | instskip(SKIP_3) | instid1(VALU_DEP_3)
	v_add_nc_u64_e32 v[2:3], v[2:3], v[4:5]
	s_wait_dscnt 0x1
	v_cmp_gt_i32_e32 vcc_lo, v1, v10
	v_cndmask_b32_e64 v4, 0, 1, vcc_lo
	v_add_nc_u64_e32 v[2:3], v[2:3], v[8:9]
	v_cmp_gt_i32_e32 vcc_lo, v1, v11
	v_cndmask_b32_e64 v6, 0, 1, vcc_lo
	s_delay_alu instid0(VALU_DEP_3) | instskip(SKIP_3) | instid1(VALU_DEP_3)
	v_add_nc_u64_e32 v[2:3], v[2:3], v[4:5]
	s_wait_dscnt 0x0
	v_cmp_gt_i32_e32 vcc_lo, v1, v12
	v_cndmask_b32_e64 v4, 0, 1, vcc_lo
	v_add_nc_u64_e32 v[2:3], v[2:3], v[6:7]
	v_cmp_gt_i32_e32 vcc_lo, v1, v13
	v_cndmask_b32_e64 v6, 0, 1, vcc_lo
	s_delay_alu instid0(VALU_DEP_3) | instskip(NEXT) | instid1(VALU_DEP_1)
	v_add_nc_u64_e32 v[2:3], v[2:3], v[4:5]
	v_add_nc_u64_e32 v[2:3], v[2:3], v[6:7]
	s_cbranch_scc0 .LBB28_53
; %bb.54:                               ;   in Loop: Header=BB28_51 Depth=1
	s_mov_b32 s8, s5
.LBB28_55:                              ;   in Loop: Header=BB28_51 Depth=1
	s_and_not1_b32 vcc_lo, exec_lo, s6
	s_cbranch_vccnz .LBB28_50
; %bb.56:                               ;   in Loop: Header=BB28_51 Depth=1
	s_lshl_b32 s8, s8, 2
	s_mov_b32 s9, s2
	s_add_co_i32 s8, s8, 0
.LBB28_57:                              ;   Parent Loop BB28_51 Depth=1
                                        ; =>  This Inner Loop Header: Depth=2
	s_delay_alu instid0(SALU_CYCLE_1)
	v_dual_mov_b32 v4, s8 :: v_dual_mov_b32 v5, s23
	s_add_co_i32 s9, s9, -1
	s_add_co_i32 s8, s8, 4
	s_cmp_lg_u32 s9, 0
	ds_load_b32 v4, v4
	s_wait_dscnt 0x0
	v_cmp_gt_i32_e32 vcc_lo, v1, v4
	v_cndmask_b32_e64 v4, 0, 1, vcc_lo
	s_delay_alu instid0(VALU_DEP_1)
	v_add_nc_u64_e32 v[2:3], v[2:3], v[4:5]
	s_cbranch_scc1 .LBB28_57
	s_branch .LBB28_50
.LBB28_58:
	s_endpgm
	.section	.rodata,"a",@progbits
	.p2align	6, 0x0
	.amdhsa_kernel _ZN9rocsparseL35csrgemm_symbolic_fill_block_per_rowILj128ELj16ELj256ELj137ELj32EliEEvT5_PKS1_S3_PKT4_S3_S6_S3_S6_S3_S6_PS1_21rocsparse_index_base_S8_S8_S8_bb
		.amdhsa_group_segment_fixed_size 0
		.amdhsa_private_segment_fixed_size 0
		.amdhsa_kernarg_size 108
		.amdhsa_user_sgpr_count 2
		.amdhsa_user_sgpr_dispatch_ptr 0
		.amdhsa_user_sgpr_queue_ptr 0
		.amdhsa_user_sgpr_kernarg_segment_ptr 1
		.amdhsa_user_sgpr_dispatch_id 0
		.amdhsa_user_sgpr_kernarg_preload_length 0
		.amdhsa_user_sgpr_kernarg_preload_offset 0
		.amdhsa_user_sgpr_private_segment_size 0
		.amdhsa_wavefront_size32 1
		.amdhsa_uses_dynamic_stack 0
		.amdhsa_enable_private_segment 0
		.amdhsa_system_sgpr_workgroup_id_x 1
		.amdhsa_system_sgpr_workgroup_id_y 0
		.amdhsa_system_sgpr_workgroup_id_z 0
		.amdhsa_system_sgpr_workgroup_info 0
		.amdhsa_system_vgpr_workitem_id 0
		.amdhsa_next_free_vgpr 16
		.amdhsa_next_free_sgpr 40
		.amdhsa_named_barrier_count 0
		.amdhsa_reserve_vcc 1
		.amdhsa_float_round_mode_32 0
		.amdhsa_float_round_mode_16_64 0
		.amdhsa_float_denorm_mode_32 3
		.amdhsa_float_denorm_mode_16_64 3
		.amdhsa_fp16_overflow 0
		.amdhsa_memory_ordered 1
		.amdhsa_forward_progress 1
		.amdhsa_inst_pref_size 18
		.amdhsa_round_robin_scheduling 0
		.amdhsa_exception_fp_ieee_invalid_op 0
		.amdhsa_exception_fp_denorm_src 0
		.amdhsa_exception_fp_ieee_div_zero 0
		.amdhsa_exception_fp_ieee_overflow 0
		.amdhsa_exception_fp_ieee_underflow 0
		.amdhsa_exception_fp_ieee_inexact 0
		.amdhsa_exception_int_div_zero 0
	.end_amdhsa_kernel
	.section	.text._ZN9rocsparseL35csrgemm_symbolic_fill_block_per_rowILj128ELj16ELj256ELj137ELj32EliEEvT5_PKS1_S3_PKT4_S3_S6_S3_S6_S3_S6_PS1_21rocsparse_index_base_S8_S8_S8_bb,"axG",@progbits,_ZN9rocsparseL35csrgemm_symbolic_fill_block_per_rowILj128ELj16ELj256ELj137ELj32EliEEvT5_PKS1_S3_PKT4_S3_S6_S3_S6_S3_S6_PS1_21rocsparse_index_base_S8_S8_S8_bb,comdat
.Lfunc_end28:
	.size	_ZN9rocsparseL35csrgemm_symbolic_fill_block_per_rowILj128ELj16ELj256ELj137ELj32EliEEvT5_PKS1_S3_PKT4_S3_S6_S3_S6_S3_S6_PS1_21rocsparse_index_base_S8_S8_S8_bb, .Lfunc_end28-_ZN9rocsparseL35csrgemm_symbolic_fill_block_per_rowILj128ELj16ELj256ELj137ELj32EliEEvT5_PKS1_S3_PKT4_S3_S6_S3_S6_S3_S6_PS1_21rocsparse_index_base_S8_S8_S8_bb
                                        ; -- End function
	.set _ZN9rocsparseL35csrgemm_symbolic_fill_block_per_rowILj128ELj16ELj256ELj137ELj32EliEEvT5_PKS1_S3_PKT4_S3_S6_S3_S6_S3_S6_PS1_21rocsparse_index_base_S8_S8_S8_bb.num_vgpr, 16
	.set _ZN9rocsparseL35csrgemm_symbolic_fill_block_per_rowILj128ELj16ELj256ELj137ELj32EliEEvT5_PKS1_S3_PKT4_S3_S6_S3_S6_S3_S6_PS1_21rocsparse_index_base_S8_S8_S8_bb.num_agpr, 0
	.set _ZN9rocsparseL35csrgemm_symbolic_fill_block_per_rowILj128ELj16ELj256ELj137ELj32EliEEvT5_PKS1_S3_PKT4_S3_S6_S3_S6_S3_S6_PS1_21rocsparse_index_base_S8_S8_S8_bb.numbered_sgpr, 40
	.set _ZN9rocsparseL35csrgemm_symbolic_fill_block_per_rowILj128ELj16ELj256ELj137ELj32EliEEvT5_PKS1_S3_PKT4_S3_S6_S3_S6_S3_S6_PS1_21rocsparse_index_base_S8_S8_S8_bb.num_named_barrier, 0
	.set _ZN9rocsparseL35csrgemm_symbolic_fill_block_per_rowILj128ELj16ELj256ELj137ELj32EliEEvT5_PKS1_S3_PKT4_S3_S6_S3_S6_S3_S6_PS1_21rocsparse_index_base_S8_S8_S8_bb.private_seg_size, 0
	.set _ZN9rocsparseL35csrgemm_symbolic_fill_block_per_rowILj128ELj16ELj256ELj137ELj32EliEEvT5_PKS1_S3_PKT4_S3_S6_S3_S6_S3_S6_PS1_21rocsparse_index_base_S8_S8_S8_bb.uses_vcc, 1
	.set _ZN9rocsparseL35csrgemm_symbolic_fill_block_per_rowILj128ELj16ELj256ELj137ELj32EliEEvT5_PKS1_S3_PKT4_S3_S6_S3_S6_S3_S6_PS1_21rocsparse_index_base_S8_S8_S8_bb.uses_flat_scratch, 0
	.set _ZN9rocsparseL35csrgemm_symbolic_fill_block_per_rowILj128ELj16ELj256ELj137ELj32EliEEvT5_PKS1_S3_PKT4_S3_S6_S3_S6_S3_S6_PS1_21rocsparse_index_base_S8_S8_S8_bb.has_dyn_sized_stack, 0
	.set _ZN9rocsparseL35csrgemm_symbolic_fill_block_per_rowILj128ELj16ELj256ELj137ELj32EliEEvT5_PKS1_S3_PKT4_S3_S6_S3_S6_S3_S6_PS1_21rocsparse_index_base_S8_S8_S8_bb.has_recursion, 0
	.set _ZN9rocsparseL35csrgemm_symbolic_fill_block_per_rowILj128ELj16ELj256ELj137ELj32EliEEvT5_PKS1_S3_PKT4_S3_S6_S3_S6_S3_S6_PS1_21rocsparse_index_base_S8_S8_S8_bb.has_indirect_call, 0
	.section	.AMDGPU.csdata,"",@progbits
; Kernel info:
; codeLenInByte = 2244
; TotalNumSgprs: 42
; NumVgprs: 16
; ScratchSize: 0
; MemoryBound: 0
; FloatMode: 240
; IeeeMode: 1
; LDSByteSize: 0 bytes/workgroup (compile time only)
; SGPRBlocks: 0
; VGPRBlocks: 0
; NumSGPRsForWavesPerEU: 42
; NumVGPRsForWavesPerEU: 16
; NamedBarCnt: 0
; Occupancy: 16
; WaveLimiterHint : 1
; COMPUTE_PGM_RSRC2:SCRATCH_EN: 0
; COMPUTE_PGM_RSRC2:USER_SGPR: 2
; COMPUTE_PGM_RSRC2:TRAP_HANDLER: 0
; COMPUTE_PGM_RSRC2:TGID_X_EN: 1
; COMPUTE_PGM_RSRC2:TGID_Y_EN: 0
; COMPUTE_PGM_RSRC2:TGID_Z_EN: 0
; COMPUTE_PGM_RSRC2:TIDIG_COMP_CNT: 0
	.section	.text._ZN9rocsparseL35csrgemm_symbolic_fill_block_per_rowILj128ELj16ELj256ELj137ELj64EliEEvT5_PKS1_S3_PKT4_S3_S6_S3_S6_S3_S6_PS1_21rocsparse_index_base_S8_S8_S8_bb,"axG",@progbits,_ZN9rocsparseL35csrgemm_symbolic_fill_block_per_rowILj128ELj16ELj256ELj137ELj64EliEEvT5_PKS1_S3_PKT4_S3_S6_S3_S6_S3_S6_PS1_21rocsparse_index_base_S8_S8_S8_bb,comdat
	.globl	_ZN9rocsparseL35csrgemm_symbolic_fill_block_per_rowILj128ELj16ELj256ELj137ELj64EliEEvT5_PKS1_S3_PKT4_S3_S6_S3_S6_S3_S6_PS1_21rocsparse_index_base_S8_S8_S8_bb ; -- Begin function _ZN9rocsparseL35csrgemm_symbolic_fill_block_per_rowILj128ELj16ELj256ELj137ELj64EliEEvT5_PKS1_S3_PKT4_S3_S6_S3_S6_S3_S6_PS1_21rocsparse_index_base_S8_S8_S8_bb
	.p2align	8
	.type	_ZN9rocsparseL35csrgemm_symbolic_fill_block_per_rowILj128ELj16ELj256ELj137ELj64EliEEvT5_PKS1_S3_PKT4_S3_S6_S3_S6_S3_S6_PS1_21rocsparse_index_base_S8_S8_S8_bb,@function
_ZN9rocsparseL35csrgemm_symbolic_fill_block_per_rowILj128ELj16ELj256ELj137ELj64EliEEvT5_PKS1_S3_PKT4_S3_S6_S3_S6_S3_S6_PS1_21rocsparse_index_base_S8_S8_S8_bb: ; @_ZN9rocsparseL35csrgemm_symbolic_fill_block_per_rowILj128ELj16ELj256ELj137ELj64EliEEvT5_PKS1_S3_PKT4_S3_S6_S3_S6_S3_S6_PS1_21rocsparse_index_base_S8_S8_S8_bb
; %bb.0:
	s_clause 0x1
	s_load_b32 s28, s[0:1], 0x0
	s_load_b128 s[24:27], s[0:1], 0x8
	v_cmp_gt_u32_e32 vcc_lo, 0x100, v0
	v_lshl_add_u32 v12, v0, 2, 0
	s_and_saveexec_b32 s4, vcc_lo
	s_cbranch_execz .LBB29_7
; %bb.1:
	v_lshl_add_u32 v1, v0, 2, 0
	s_mov_b32 s5, 0
	s_mov_b32 s2, 0
	s_branch .LBB29_3
.LBB29_2:                               ;   in Loop: Header=BB29_3 Depth=1
	s_or_b32 exec_lo, exec_lo, s6
	s_add_co_i32 s2, s2, 2
	v_add_nc_u32_e32 v1, 0x400, v1
	v_cmp_eq_u32_e64 s3, 2, s2
	s_or_b32 s5, s3, s5
	s_delay_alu instid0(SALU_CYCLE_1)
	s_and_not1_b32 exec_lo, exec_lo, s5
	s_cbranch_execz .LBB29_7
.LBB29_3:                               ; =>This Inner Loop Header: Depth=1
	s_mov_b32 s3, s2
	s_delay_alu instid0(SALU_CYCLE_1) | instskip(NEXT) | instid1(SALU_CYCLE_1)
	s_or_b64 s[6:7], s[2:3], 0x100000000
	v_cmp_le_u32_e64 s3, s7, 1
	v_cmp_le_u32_e64 s7, s6, 1
	s_and_saveexec_b32 s6, s7
	s_cbranch_execz .LBB29_5
; %bb.4:                                ;   in Loop: Header=BB29_3 Depth=1
	s_wait_kmcnt 0x0
	v_mov_b32_e32 v2, s28
	ds_store_b32 v1, v2
.LBB29_5:                               ;   in Loop: Header=BB29_3 Depth=1
	s_or_b32 exec_lo, exec_lo, s6
	s_and_saveexec_b32 s6, s3
	s_cbranch_execz .LBB29_2
; %bb.6:                                ;   in Loop: Header=BB29_3 Depth=1
	s_wait_kmcnt 0x0
	v_mov_b32_e32 v2, s28
	ds_store_b32 v1, v2 offset:512
	s_branch .LBB29_2
.LBB29_7:
	s_or_b32 exec_lo, exec_lo, s4
	s_clause 0x1
	s_load_b256 s[4:11], s[0:1], 0x38
	s_load_b256 s[12:19], s[0:1], 0x18
	s_wait_dscnt 0x0
	s_barrier_signal -1
	s_barrier_wait -1
	s_wait_kmcnt 0x0
	s_load_b32 s2, s[24:25], 0x0
	s_bfe_u32 s3, ttmp6, 0x4000c
	s_and_b32 s20, ttmp6, 15
	s_add_co_i32 s3, s3, 1
	s_getreg_b32 s21, hwreg(HW_REG_IB_STS2, 6, 4)
	s_mul_i32 s3, ttmp9, s3
	s_load_b32 s29, s[0:1], 0x68
	s_add_co_i32 s20, s20, s3
	s_cmp_eq_u32 s21, 0
	v_lshrrev_b32_e32 v2, 4, v0
	s_cselect_b32 s3, ttmp9, s20
	s_wait_kmcnt 0x0
	s_add_co_i32 s3, s2, s3
	s_load_b128 s[20:23], s[0:1], 0x58
	s_load_b32 s2, s[26:27], s3 offset:0x0 scale_offset
	s_wait_xcnt 0x0
	s_mov_b32 s1, 0
	s_bitcmp0_b32 s29, 0
	s_cbranch_scc1 .LBB29_23
; %bb.8:
	s_wait_kmcnt 0x0
	s_ashr_i32 s3, s2, 31
	v_mov_b32_e32 v3, 0
	s_lshl_b64 s[24:25], s[2:3], 3
	s_mov_b32 s0, s20
	s_add_nc_u64 s[12:13], s[12:13], s[24:25]
	s_delay_alu instid0(VALU_DEP_1) | instskip(SKIP_2) | instid1(VALU_DEP_1)
	v_sub_nc_u64_e64 v[4:5], v[2:3], s[0:1]
	s_load_b128 s[24:27], s[12:13], 0x0
	s_wait_kmcnt 0x0
	v_add_nc_u64_e32 v[4:5], s[24:25], v[4:5]
	s_sub_nc_u64 s[12:13], s[26:27], s[0:1]
	s_mov_b32 s1, exec_lo
	s_delay_alu instid0(VALU_DEP_1)
	v_cmpx_gt_i64_e64 s[12:13], v[4:5]
	s_cbranch_execz .LBB29_22
; %bb.9:
	v_dual_mov_b32 v7, v3 :: v_dual_bitop2_b32 v6, 15, v0 bitop3:0x40
	s_mov_b32 s25, 0
	s_mov_b32 s24, s21
	;; [unrolled: 1-line block ×3, first 2 shown]
	s_delay_alu instid0(VALU_DEP_1)
	v_sub_nc_u64_e64 v[6:7], v[6:7], s[24:25]
	s_branch .LBB29_11
.LBB29_10:                              ;   in Loop: Header=BB29_11 Depth=1
	s_or_b32 exec_lo, exec_lo, s26
	v_add_nc_u64_e32 v[4:5], 8, v[4:5]
	s_delay_alu instid0(VALU_DEP_1) | instskip(SKIP_1) | instid1(SALU_CYCLE_1)
	v_cmp_le_i64_e64 s0, s[12:13], v[4:5]
	s_or_b32 s3, s0, s3
	s_and_not1_b32 exec_lo, exec_lo, s3
	s_cbranch_execz .LBB29_22
.LBB29_11:                              ; =>This Loop Header: Depth=1
                                        ;     Child Loop BB29_14 Depth 2
                                        ;       Child Loop BB29_17 Depth 3
	v_lshl_add_u64 v[8:9], v[4:5], 2, s[14:15]
	s_mov_b32 s26, exec_lo
	global_load_b32 v1, v[8:9], off
	s_wait_loadcnt 0x0
	v_subrev_nc_u32_e32 v8, s20, v1
	s_delay_alu instid0(VALU_DEP_1) | instskip(NEXT) | instid1(VALU_DEP_1)
	v_ashrrev_i32_e32 v9, 31, v8
	v_lshl_add_u64 v[8:9], v[8:9], 3, s[16:17]
	global_load_b128 v[14:17], v[8:9], off
	s_wait_loadcnt 0x0
	v_sub_nc_u64_e64 v[8:9], v[16:17], s[24:25]
	v_add_nc_u64_e32 v[10:11], v[14:15], v[6:7]
	s_delay_alu instid0(VALU_DEP_1)
	v_cmpx_lt_i64_e64 v[10:11], v[8:9]
	s_cbranch_execz .LBB29_10
; %bb.12:                               ;   in Loop: Header=BB29_11 Depth=1
	s_mov_b32 s27, 0
	s_branch .LBB29_14
.LBB29_13:                              ;   in Loop: Header=BB29_14 Depth=2
	s_or_b32 exec_lo, exec_lo, s30
	v_add_nc_u64_e32 v[10:11], 16, v[10:11]
	s_delay_alu instid0(VALU_DEP_1) | instskip(SKIP_1) | instid1(SALU_CYCLE_1)
	v_cmp_ge_i64_e64 s0, v[10:11], v[8:9]
	s_or_b32 s27, s0, s27
	s_and_not1_b32 exec_lo, exec_lo, s27
	s_cbranch_execz .LBB29_10
.LBB29_14:                              ;   Parent Loop BB29_11 Depth=1
                                        ; =>  This Loop Header: Depth=2
                                        ;       Child Loop BB29_17 Depth 3
	v_lshl_add_u64 v[14:15], v[10:11], 2, s[18:19]
	s_mov_b32 s30, 0
                                        ; implicit-def: $sgpr31
	global_load_b32 v1, v[14:15], off
	s_wait_loadcnt 0x0
	v_subrev_nc_u32_e32 v1, s21, v1
	s_delay_alu instid0(VALU_DEP_1) | instskip(NEXT) | instid1(VALU_DEP_1)
	v_mul_lo_u32 v3, 0x89, v1
	v_and_b32_e32 v3, 0xff, v3
	s_branch .LBB29_17
.LBB29_15:                              ;   in Loop: Header=BB29_17 Depth=3
	s_or_b32 exec_lo, exec_lo, s34
	s_delay_alu instid0(SALU_CYCLE_1) | instskip(SKIP_1) | instid1(SALU_CYCLE_1)
	s_and_not1_b32 s31, s31, exec_lo
	s_and_b32 s0, s0, exec_lo
	s_or_b32 s31, s31, s0
.LBB29_16:                              ;   in Loop: Header=BB29_17 Depth=3
	s_or_b32 exec_lo, exec_lo, s33
	s_xor_b32 s0, s31, -1
	s_delay_alu instid0(SALU_CYCLE_1) | instskip(NEXT) | instid1(SALU_CYCLE_1)
	s_and_b32 s0, exec_lo, s0
	s_or_b32 s30, s0, s30
	s_delay_alu instid0(SALU_CYCLE_1)
	s_and_not1_b32 exec_lo, exec_lo, s30
	s_cbranch_execz .LBB29_13
.LBB29_17:                              ;   Parent Loop BB29_11 Depth=1
                                        ;     Parent Loop BB29_14 Depth=2
                                        ; =>    This Inner Loop Header: Depth=3
	s_delay_alu instid0(VALU_DEP_1)
	v_lshl_add_u32 v13, v3, 2, 0
	s_and_not1_b32 s31, s31, exec_lo
	s_mov_b32 s33, exec_lo
	ds_load_b32 v14, v13
	s_wait_dscnt 0x0
	v_cmpx_ne_u32_e64 v14, v1
	s_cbranch_execz .LBB29_16
; %bb.18:                               ;   in Loop: Header=BB29_17 Depth=3
	v_cmp_ne_u32_e64 s0, s28, v14
	s_and_saveexec_b32 s34, s0
	s_delay_alu instid0(SALU_CYCLE_1)
	s_xor_b32 s0, exec_lo, s34
; %bb.19:                               ;   in Loop: Header=BB29_17 Depth=3
	v_add_nc_u32_e32 v3, 1, v3
                                        ; implicit-def: $vgpr13
	s_delay_alu instid0(VALU_DEP_1)
	v_and_b32_e32 v3, 0xff, v3
; %bb.20:                               ;   in Loop: Header=BB29_17 Depth=3
	s_or_saveexec_b32 s34, s0
	s_mov_b32 s0, -1
	s_xor_b32 exec_lo, exec_lo, s34
	s_cbranch_execz .LBB29_15
; %bb.21:                               ;   in Loop: Header=BB29_17 Depth=3
	v_mov_b32_e32 v14, s28
	ds_cmpstore_rtn_b32 v13, v13, v1, v14
	s_wait_dscnt 0x0
	v_cmp_ne_u32_e64 s0, s28, v13
	s_or_not1_b32 s0, s0, exec_lo
	s_branch .LBB29_15
.LBB29_22:
	s_or_b32 exec_lo, exec_lo, s1
.LBB29_23:
	s_bfe_u32 s0, s29, 0x10008
	s_delay_alu instid0(SALU_CYCLE_1)
	s_cmp_eq_u32 s0, 0
	s_cbranch_scc1 .LBB29_26
; %bb.24:
	s_wait_kmcnt 0x0
	s_ashr_i32 s3, s2, 31
	v_mov_b32_e32 v1, 0
	s_lshl_b64 s[0:1], s[2:3], 3
	s_mov_b32 s3, exec_lo
	s_add_nc_u64 s[0:1], s[4:5], s[0:1]
	s_load_b128 s[12:15], s[0:1], 0x0
	s_wait_xcnt 0x0
	s_mov_b32 s1, 0
	s_mov_b32 s0, s23
	s_delay_alu instid0(SALU_CYCLE_1) | instskip(SKIP_1) | instid1(VALU_DEP_1)
	v_sub_nc_u64_e64 v[4:5], v[0:1], s[0:1]
	s_wait_kmcnt 0x0
	v_add_nc_u64_e32 v[4:5], s[12:13], v[4:5]
	s_sub_nc_u64 s[4:5], s[14:15], s[0:1]
	s_delay_alu instid0(VALU_DEP_1) | instid1(SALU_CYCLE_1)
	v_cmpx_gt_i64_e64 s[4:5], v[4:5]
	s_cbranch_execnz .LBB29_36
.LBB29_25:
	s_or_b32 exec_lo, exec_lo, s3
.LBB29_26:
	s_barrier_signal -1
	s_barrier_wait -1
	s_and_saveexec_b32 s3, vcc_lo
	s_cbranch_execz .LBB29_44
; %bb.27:
	v_mbcnt_lo_u32_b32 v3, -1, 0
	v_dual_mov_b32 v1, 0 :: v_dual_bitop2_b32 v2, 4, v2 bitop3:0x40
	v_cmp_eq_u32_e64 s0, 0x7f, v0
	s_mov_b32 s4, 0
	v_xor_b32_e32 v5, 31, v3
	v_or_b32_e32 v3, 0xffffff80, v0
	v_add_nc_u32_e32 v4, 0, v2
	v_cmp_lt_u32_e32 vcc_lo, 63, v0
	s_delay_alu instid0(VALU_DEP_4)
	v_lshrrev_b32_e64 v2, v5, -1
	v_mov_b32_e32 v5, 0
	s_branch .LBB29_29
.LBB29_28:                              ;   in Loop: Header=BB29_29 Depth=1
	s_or_b32 exec_lo, exec_lo, s1
	s_wait_dscnt 0x0
	s_barrier_signal -1
	s_barrier_wait -1
	ds_load_b32 v6, v1 offset:1028
	v_add_co_u32 v3, s1, 0x80, v3
	s_xor_b32 s1, s1, -1
	v_add_nc_u32_e32 v12, 0x200, v12
	s_and_b32 s1, exec_lo, s1
	s_delay_alu instid0(SALU_CYCLE_1)
	s_or_b32 s4, s1, s4
	s_wait_dscnt 0x0
	v_add_nc_u32_e32 v5, v6, v5
	s_and_not1_b32 exec_lo, exec_lo, s4
	s_cbranch_execz .LBB29_44
.LBB29_29:                              ; =>This Inner Loop Header: Depth=1
	ds_load_b32 v6, v12
	s_wait_dscnt 0x0
	s_barrier_signal -1
	s_barrier_wait -1
	v_cmp_gt_i32_e64 s1, s28, v6
	s_bcnt1_i32_b32 s5, s1
	s_delay_alu instid0(SALU_CYCLE_1) | instskip(NEXT) | instid1(VALU_DEP_1)
	v_dual_mov_b32 v8, s5 :: v_dual_bitop2_b32 v7, s1, v2 bitop3:0x40
	v_bcnt_u32_b32 v7, v7, 0
	ds_store_b32 v4, v8 offset:1024
	s_wait_dscnt 0x0
	s_barrier_signal -1
	s_barrier_wait -1
	s_and_saveexec_b32 s5, vcc_lo
	s_cbranch_execnz .LBB29_32
; %bb.30:                               ;   in Loop: Header=BB29_29 Depth=1
	s_or_b32 exec_lo, exec_lo, s5
	s_and_saveexec_b32 s5, s1
	s_cbranch_execnz .LBB29_33
.LBB29_31:                              ;   in Loop: Header=BB29_29 Depth=1
	s_or_b32 exec_lo, exec_lo, s5
	s_and_saveexec_b32 s1, s0
	s_cbranch_execz .LBB29_28
	s_branch .LBB29_34
.LBB29_32:                              ;   in Loop: Header=BB29_29 Depth=1
	ds_load_b32 v8, v1 offset:1024
	s_wait_dscnt 0x0
	v_add_nc_u32_e32 v7, v8, v7
	s_or_b32 exec_lo, exec_lo, s5
	s_and_saveexec_b32 s5, s1
	s_cbranch_execz .LBB29_31
.LBB29_33:                              ;   in Loop: Header=BB29_29 Depth=1
	s_delay_alu instid0(VALU_DEP_1) | instskip(NEXT) | instid1(VALU_DEP_1)
	v_dual_lshlrev_b32 v8, 2, v5 :: v_dual_lshlrev_b32 v9, 2, v7
	v_add_nc_u32_e32 v8, 0, v8
	s_delay_alu instid0(VALU_DEP_1)
	v_add3_u32 v8, v8, v9, -4
	ds_store_b32 v8, v6
	s_or_b32 exec_lo, exec_lo, s5
	s_and_saveexec_b32 s1, s0
	s_cbranch_execz .LBB29_28
.LBB29_34:                              ;   in Loop: Header=BB29_29 Depth=1
	ds_store_b32 v1, v7 offset:1028
	s_branch .LBB29_28
.LBB29_35:                              ;   in Loop: Header=BB29_36 Depth=1
	s_or_b32 exec_lo, exec_lo, s12
	v_add_nc_u64_e32 v[4:5], 0x80, v[4:5]
	s_delay_alu instid0(VALU_DEP_1) | instskip(SKIP_1) | instid1(SALU_CYCLE_1)
	v_cmp_le_i64_e64 s0, s[4:5], v[4:5]
	s_or_b32 s1, s0, s1
	s_and_not1_b32 exec_lo, exec_lo, s1
	s_cbranch_execz .LBB29_25
.LBB29_36:                              ; =>This Loop Header: Depth=1
                                        ;     Child Loop BB29_39 Depth 2
	v_lshl_add_u64 v[6:7], v[4:5], 2, s[6:7]
	s_mov_b32 s12, 0
                                        ; implicit-def: $sgpr13
	global_load_b32 v1, v[6:7], off
	s_wait_loadcnt 0x0
	v_subrev_nc_u32_e32 v1, s23, v1
	s_delay_alu instid0(VALU_DEP_1) | instskip(NEXT) | instid1(VALU_DEP_1)
	v_mul_lo_u32 v3, 0x89, v1
	v_and_b32_e32 v3, 0xff, v3
	s_branch .LBB29_39
.LBB29_37:                              ;   in Loop: Header=BB29_39 Depth=2
	s_or_b32 exec_lo, exec_lo, s15
	s_delay_alu instid0(SALU_CYCLE_1) | instskip(SKIP_1) | instid1(SALU_CYCLE_1)
	s_and_not1_b32 s13, s13, exec_lo
	s_and_b32 s0, s0, exec_lo
	s_or_b32 s13, s13, s0
.LBB29_38:                              ;   in Loop: Header=BB29_39 Depth=2
	s_or_b32 exec_lo, exec_lo, s14
	s_xor_b32 s0, s13, -1
	s_delay_alu instid0(SALU_CYCLE_1) | instskip(NEXT) | instid1(SALU_CYCLE_1)
	s_and_b32 s0, exec_lo, s0
	s_or_b32 s12, s0, s12
	s_delay_alu instid0(SALU_CYCLE_1)
	s_and_not1_b32 exec_lo, exec_lo, s12
	s_cbranch_execz .LBB29_35
.LBB29_39:                              ;   Parent Loop BB29_36 Depth=1
                                        ; =>  This Inner Loop Header: Depth=2
	s_delay_alu instid0(VALU_DEP_1)
	v_lshl_add_u32 v6, v3, 2, 0
	s_and_not1_b32 s13, s13, exec_lo
	s_mov_b32 s14, exec_lo
	ds_load_b32 v7, v6
	s_wait_dscnt 0x0
	v_cmpx_ne_u32_e64 v7, v1
	s_cbranch_execz .LBB29_38
; %bb.40:                               ;   in Loop: Header=BB29_39 Depth=2
	v_cmp_ne_u32_e64 s0, s28, v7
	s_and_saveexec_b32 s15, s0
	s_delay_alu instid0(SALU_CYCLE_1)
	s_xor_b32 s0, exec_lo, s15
; %bb.41:                               ;   in Loop: Header=BB29_39 Depth=2
	v_add_nc_u32_e32 v3, 1, v3
                                        ; implicit-def: $vgpr6
	s_delay_alu instid0(VALU_DEP_1)
	v_and_b32_e32 v3, 0xff, v3
; %bb.42:                               ;   in Loop: Header=BB29_39 Depth=2
	s_or_saveexec_b32 s15, s0
	s_mov_b32 s0, -1
	s_xor_b32 exec_lo, exec_lo, s15
	s_cbranch_execz .LBB29_37
; %bb.43:                               ;   in Loop: Header=BB29_39 Depth=2
	v_mov_b32_e32 v7, s28
	ds_cmpstore_rtn_b32 v6, v6, v1, v7
	s_wait_dscnt 0x0
	v_cmp_ne_u32_e64 s0, s28, v6
	s_or_not1_b32 s0, s0, exec_lo
	s_branch .LBB29_37
.LBB29_44:
	s_or_b32 exec_lo, exec_lo, s3
	s_wait_kmcnt 0x0
	s_ashr_i32 s3, s2, 31
	s_delay_alu instid0(SALU_CYCLE_1) | instskip(NEXT) | instid1(SALU_CYCLE_1)
	s_lshl_b64 s[0:1], s[2:3], 3
	s_add_nc_u64 s[4:5], s[8:9], s[0:1]
	s_load_b128 s[0:3], s[4:5], 0x0
	s_wait_xcnt 0x0
	s_mov_b32 s4, exec_lo
	s_wait_kmcnt 0x0
	s_sub_co_i32 s3, s2, s0
	s_delay_alu instid0(SALU_CYCLE_1)
	v_cmpx_gt_i32_e64 s3, v0
	s_cbranch_execz .LBB29_54
; %bb.45:
	s_sub_co_i32 s4, s0, s2
	s_and_b32 s2, s3, 7
	s_cmp_lt_u32 s4, -7
	s_mov_b32 s23, 0
	s_cselect_b32 s4, -1, 0
	s_and_b32 s5, s3, -8
	s_cmp_lg_u32 s2, 0
	s_sub_nc_u64 s[0:1], s[0:1], s[22:23]
	s_cselect_b32 s6, -1, 0
	s_mov_b32 s7, 0
	s_branch .LBB29_47
.LBB29_46:                              ;   in Loop: Header=BB29_47 Depth=1
	v_add_nc_u32_e32 v0, 0x80, v0
	s_wait_dscnt 0x0
	v_add_nc_u32_e32 v1, s22, v1
	s_delay_alu instid0(VALU_DEP_3) | instskip(NEXT) | instid1(VALU_DEP_3)
	v_lshl_add_u64 v[2:3], v[2:3], 2, s[10:11]
	v_cmp_le_i32_e32 vcc_lo, s3, v0
	global_store_b32 v[2:3], v1, off
	s_or_b32 s7, vcc_lo, s7
	s_wait_xcnt 0x0
	s_and_not1_b32 exec_lo, exec_lo, s7
	s_cbranch_execz .LBB29_54
.LBB29_47:                              ; =>This Loop Header: Depth=1
                                        ;     Child Loop BB29_49 Depth 2
                                        ;     Child Loop BB29_53 Depth 2
	v_lshl_add_u32 v1, v0, 2, 0
	v_mov_b64_e32 v[2:3], s[0:1]
	s_and_not1_b32 vcc_lo, exec_lo, s4
	s_mov_b32 s8, 0
	ds_load_b32 v1, v1
	s_cbranch_vccnz .LBB29_51
; %bb.48:                               ;   in Loop: Header=BB29_47 Depth=1
	v_mov_b64_e32 v[2:3], s[0:1]
	s_mov_b32 s9, 0
.LBB29_49:                              ;   Parent Loop BB29_47 Depth=1
                                        ; =>  This Inner Loop Header: Depth=2
	s_delay_alu instid0(SALU_CYCLE_1)
	v_dual_mov_b32 v8, s9 :: v_dual_mov_b32 v9, s23
	v_mov_b32_e32 v15, s23
	s_add_co_i32 s8, s8, 8
	s_add_co_i32 s9, s9, 32
	ds_load_2addr_b32 v[4:5], v8 offset1:1
	ds_load_2addr_b32 v[6:7], v8 offset0:2 offset1:3
	ds_load_2addr_b32 v[10:11], v8 offset0:4 offset1:5
	;; [unrolled: 1-line block ×3, first 2 shown]
	s_cmp_eq_u32 s5, s8
	s_wait_dscnt 0x3
	v_cmp_gt_i32_e32 vcc_lo, v1, v4
	v_cndmask_b32_e64 v8, 0, 1, vcc_lo
	v_cmp_gt_i32_e32 vcc_lo, v1, v5
	v_mov_b32_e32 v5, s23
	s_delay_alu instid0(VALU_DEP_3) | instskip(SKIP_4) | instid1(VALU_DEP_3)
	v_add_nc_u64_e32 v[2:3], v[2:3], v[8:9]
	v_cndmask_b32_e64 v14, 0, 1, vcc_lo
	s_wait_dscnt 0x2
	v_cmp_gt_i32_e32 vcc_lo, v1, v6
	v_cndmask_b32_e64 v4, 0, 1, vcc_lo
	v_add_nc_u64_e32 v[2:3], v[2:3], v[14:15]
	v_cmp_gt_i32_e32 vcc_lo, v1, v7
	v_mov_b32_e32 v7, s23
	v_cndmask_b32_e64 v8, 0, 1, vcc_lo
	s_delay_alu instid0(VALU_DEP_4) | instskip(SKIP_3) | instid1(VALU_DEP_3)
	v_add_nc_u64_e32 v[2:3], v[2:3], v[4:5]
	s_wait_dscnt 0x1
	v_cmp_gt_i32_e32 vcc_lo, v1, v10
	v_cndmask_b32_e64 v4, 0, 1, vcc_lo
	v_add_nc_u64_e32 v[2:3], v[2:3], v[8:9]
	v_cmp_gt_i32_e32 vcc_lo, v1, v11
	v_cndmask_b32_e64 v6, 0, 1, vcc_lo
	s_delay_alu instid0(VALU_DEP_3) | instskip(SKIP_3) | instid1(VALU_DEP_3)
	v_add_nc_u64_e32 v[2:3], v[2:3], v[4:5]
	s_wait_dscnt 0x0
	v_cmp_gt_i32_e32 vcc_lo, v1, v12
	v_cndmask_b32_e64 v4, 0, 1, vcc_lo
	v_add_nc_u64_e32 v[2:3], v[2:3], v[6:7]
	v_cmp_gt_i32_e32 vcc_lo, v1, v13
	v_cndmask_b32_e64 v6, 0, 1, vcc_lo
	s_delay_alu instid0(VALU_DEP_3) | instskip(NEXT) | instid1(VALU_DEP_1)
	v_add_nc_u64_e32 v[2:3], v[2:3], v[4:5]
	v_add_nc_u64_e32 v[2:3], v[2:3], v[6:7]
	s_cbranch_scc0 .LBB29_49
; %bb.50:                               ;   in Loop: Header=BB29_47 Depth=1
	s_mov_b32 s8, s5
.LBB29_51:                              ;   in Loop: Header=BB29_47 Depth=1
	s_and_not1_b32 vcc_lo, exec_lo, s6
	s_cbranch_vccnz .LBB29_46
; %bb.52:                               ;   in Loop: Header=BB29_47 Depth=1
	s_lshl_b32 s8, s8, 2
	s_mov_b32 s9, s2
	s_add_co_i32 s8, s8, 0
.LBB29_53:                              ;   Parent Loop BB29_47 Depth=1
                                        ; =>  This Inner Loop Header: Depth=2
	s_delay_alu instid0(SALU_CYCLE_1)
	v_dual_mov_b32 v4, s8 :: v_dual_mov_b32 v5, s23
	s_add_co_i32 s9, s9, -1
	s_add_co_i32 s8, s8, 4
	s_cmp_lg_u32 s9, 0
	ds_load_b32 v4, v4
	s_wait_dscnt 0x0
	v_cmp_gt_i32_e32 vcc_lo, v1, v4
	v_cndmask_b32_e64 v4, 0, 1, vcc_lo
	s_delay_alu instid0(VALU_DEP_1)
	v_add_nc_u64_e32 v[2:3], v[2:3], v[4:5]
	s_cbranch_scc1 .LBB29_53
	s_branch .LBB29_46
.LBB29_54:
	s_endpgm
	.section	.rodata,"a",@progbits
	.p2align	6, 0x0
	.amdhsa_kernel _ZN9rocsparseL35csrgemm_symbolic_fill_block_per_rowILj128ELj16ELj256ELj137ELj64EliEEvT5_PKS1_S3_PKT4_S3_S6_S3_S6_S3_S6_PS1_21rocsparse_index_base_S8_S8_S8_bb
		.amdhsa_group_segment_fixed_size 0
		.amdhsa_private_segment_fixed_size 0
		.amdhsa_kernarg_size 108
		.amdhsa_user_sgpr_count 2
		.amdhsa_user_sgpr_dispatch_ptr 0
		.amdhsa_user_sgpr_queue_ptr 0
		.amdhsa_user_sgpr_kernarg_segment_ptr 1
		.amdhsa_user_sgpr_dispatch_id 0
		.amdhsa_user_sgpr_kernarg_preload_length 0
		.amdhsa_user_sgpr_kernarg_preload_offset 0
		.amdhsa_user_sgpr_private_segment_size 0
		.amdhsa_wavefront_size32 1
		.amdhsa_uses_dynamic_stack 0
		.amdhsa_enable_private_segment 0
		.amdhsa_system_sgpr_workgroup_id_x 1
		.amdhsa_system_sgpr_workgroup_id_y 0
		.amdhsa_system_sgpr_workgroup_id_z 0
		.amdhsa_system_sgpr_workgroup_info 0
		.amdhsa_system_vgpr_workitem_id 0
		.amdhsa_next_free_vgpr 18
		.amdhsa_next_free_sgpr 35
		.amdhsa_named_barrier_count 0
		.amdhsa_reserve_vcc 1
		.amdhsa_float_round_mode_32 0
		.amdhsa_float_round_mode_16_64 0
		.amdhsa_float_denorm_mode_32 3
		.amdhsa_float_denorm_mode_16_64 3
		.amdhsa_fp16_overflow 0
		.amdhsa_memory_ordered 1
		.amdhsa_forward_progress 1
		.amdhsa_inst_pref_size 17
		.amdhsa_round_robin_scheduling 0
		.amdhsa_exception_fp_ieee_invalid_op 0
		.amdhsa_exception_fp_denorm_src 0
		.amdhsa_exception_fp_ieee_div_zero 0
		.amdhsa_exception_fp_ieee_overflow 0
		.amdhsa_exception_fp_ieee_underflow 0
		.amdhsa_exception_fp_ieee_inexact 0
		.amdhsa_exception_int_div_zero 0
	.end_amdhsa_kernel
	.section	.text._ZN9rocsparseL35csrgemm_symbolic_fill_block_per_rowILj128ELj16ELj256ELj137ELj64EliEEvT5_PKS1_S3_PKT4_S3_S6_S3_S6_S3_S6_PS1_21rocsparse_index_base_S8_S8_S8_bb,"axG",@progbits,_ZN9rocsparseL35csrgemm_symbolic_fill_block_per_rowILj128ELj16ELj256ELj137ELj64EliEEvT5_PKS1_S3_PKT4_S3_S6_S3_S6_S3_S6_PS1_21rocsparse_index_base_S8_S8_S8_bb,comdat
.Lfunc_end29:
	.size	_ZN9rocsparseL35csrgemm_symbolic_fill_block_per_rowILj128ELj16ELj256ELj137ELj64EliEEvT5_PKS1_S3_PKT4_S3_S6_S3_S6_S3_S6_PS1_21rocsparse_index_base_S8_S8_S8_bb, .Lfunc_end29-_ZN9rocsparseL35csrgemm_symbolic_fill_block_per_rowILj128ELj16ELj256ELj137ELj64EliEEvT5_PKS1_S3_PKT4_S3_S6_S3_S6_S3_S6_PS1_21rocsparse_index_base_S8_S8_S8_bb
                                        ; -- End function
	.set _ZN9rocsparseL35csrgemm_symbolic_fill_block_per_rowILj128ELj16ELj256ELj137ELj64EliEEvT5_PKS1_S3_PKT4_S3_S6_S3_S6_S3_S6_PS1_21rocsparse_index_base_S8_S8_S8_bb.num_vgpr, 18
	.set _ZN9rocsparseL35csrgemm_symbolic_fill_block_per_rowILj128ELj16ELj256ELj137ELj64EliEEvT5_PKS1_S3_PKT4_S3_S6_S3_S6_S3_S6_PS1_21rocsparse_index_base_S8_S8_S8_bb.num_agpr, 0
	.set _ZN9rocsparseL35csrgemm_symbolic_fill_block_per_rowILj128ELj16ELj256ELj137ELj64EliEEvT5_PKS1_S3_PKT4_S3_S6_S3_S6_S3_S6_PS1_21rocsparse_index_base_S8_S8_S8_bb.numbered_sgpr, 35
	.set _ZN9rocsparseL35csrgemm_symbolic_fill_block_per_rowILj128ELj16ELj256ELj137ELj64EliEEvT5_PKS1_S3_PKT4_S3_S6_S3_S6_S3_S6_PS1_21rocsparse_index_base_S8_S8_S8_bb.num_named_barrier, 0
	.set _ZN9rocsparseL35csrgemm_symbolic_fill_block_per_rowILj128ELj16ELj256ELj137ELj64EliEEvT5_PKS1_S3_PKT4_S3_S6_S3_S6_S3_S6_PS1_21rocsparse_index_base_S8_S8_S8_bb.private_seg_size, 0
	.set _ZN9rocsparseL35csrgemm_symbolic_fill_block_per_rowILj128ELj16ELj256ELj137ELj64EliEEvT5_PKS1_S3_PKT4_S3_S6_S3_S6_S3_S6_PS1_21rocsparse_index_base_S8_S8_S8_bb.uses_vcc, 1
	.set _ZN9rocsparseL35csrgemm_symbolic_fill_block_per_rowILj128ELj16ELj256ELj137ELj64EliEEvT5_PKS1_S3_PKT4_S3_S6_S3_S6_S3_S6_PS1_21rocsparse_index_base_S8_S8_S8_bb.uses_flat_scratch, 0
	.set _ZN9rocsparseL35csrgemm_symbolic_fill_block_per_rowILj128ELj16ELj256ELj137ELj64EliEEvT5_PKS1_S3_PKT4_S3_S6_S3_S6_S3_S6_PS1_21rocsparse_index_base_S8_S8_S8_bb.has_dyn_sized_stack, 0
	.set _ZN9rocsparseL35csrgemm_symbolic_fill_block_per_rowILj128ELj16ELj256ELj137ELj64EliEEvT5_PKS1_S3_PKT4_S3_S6_S3_S6_S3_S6_PS1_21rocsparse_index_base_S8_S8_S8_bb.has_recursion, 0
	.set _ZN9rocsparseL35csrgemm_symbolic_fill_block_per_rowILj128ELj16ELj256ELj137ELj64EliEEvT5_PKS1_S3_PKT4_S3_S6_S3_S6_S3_S6_PS1_21rocsparse_index_base_S8_S8_S8_bb.has_indirect_call, 0
	.section	.AMDGPU.csdata,"",@progbits
; Kernel info:
; codeLenInByte = 2144
; TotalNumSgprs: 37
; NumVgprs: 18
; ScratchSize: 0
; MemoryBound: 0
; FloatMode: 240
; IeeeMode: 1
; LDSByteSize: 0 bytes/workgroup (compile time only)
; SGPRBlocks: 0
; VGPRBlocks: 1
; NumSGPRsForWavesPerEU: 37
; NumVGPRsForWavesPerEU: 18
; NamedBarCnt: 0
; Occupancy: 16
; WaveLimiterHint : 1
; COMPUTE_PGM_RSRC2:SCRATCH_EN: 0
; COMPUTE_PGM_RSRC2:USER_SGPR: 2
; COMPUTE_PGM_RSRC2:TRAP_HANDLER: 0
; COMPUTE_PGM_RSRC2:TGID_X_EN: 1
; COMPUTE_PGM_RSRC2:TGID_Y_EN: 0
; COMPUTE_PGM_RSRC2:TGID_Z_EN: 0
; COMPUTE_PGM_RSRC2:TIDIG_COMP_CNT: 0
	.section	.text._ZN9rocsparseL35csrgemm_symbolic_fill_block_per_rowILj256ELj32ELj512ELj137ELj32EliEEvT5_PKS1_S3_PKT4_S3_S6_S3_S6_S3_S6_PS1_21rocsparse_index_base_S8_S8_S8_bb,"axG",@progbits,_ZN9rocsparseL35csrgemm_symbolic_fill_block_per_rowILj256ELj32ELj512ELj137ELj32EliEEvT5_PKS1_S3_PKT4_S3_S6_S3_S6_S3_S6_PS1_21rocsparse_index_base_S8_S8_S8_bb,comdat
	.globl	_ZN9rocsparseL35csrgemm_symbolic_fill_block_per_rowILj256ELj32ELj512ELj137ELj32EliEEvT5_PKS1_S3_PKT4_S3_S6_S3_S6_S3_S6_PS1_21rocsparse_index_base_S8_S8_S8_bb ; -- Begin function _ZN9rocsparseL35csrgemm_symbolic_fill_block_per_rowILj256ELj32ELj512ELj137ELj32EliEEvT5_PKS1_S3_PKT4_S3_S6_S3_S6_S3_S6_PS1_21rocsparse_index_base_S8_S8_S8_bb
	.p2align	8
	.type	_ZN9rocsparseL35csrgemm_symbolic_fill_block_per_rowILj256ELj32ELj512ELj137ELj32EliEEvT5_PKS1_S3_PKT4_S3_S6_S3_S6_S3_S6_PS1_21rocsparse_index_base_S8_S8_S8_bb,@function
_ZN9rocsparseL35csrgemm_symbolic_fill_block_per_rowILj256ELj32ELj512ELj137ELj32EliEEvT5_PKS1_S3_PKT4_S3_S6_S3_S6_S3_S6_PS1_21rocsparse_index_base_S8_S8_S8_bb: ; @_ZN9rocsparseL35csrgemm_symbolic_fill_block_per_rowILj256ELj32ELj512ELj137ELj32EliEEvT5_PKS1_S3_PKT4_S3_S6_S3_S6_S3_S6_PS1_21rocsparse_index_base_S8_S8_S8_bb
; %bb.0:
	s_clause 0x1
	s_load_b32 s28, s[0:1], 0x0
	s_load_b128 s[24:27], s[0:1], 0x8
	v_cmp_gt_u32_e32 vcc_lo, 0x200, v0
	v_lshl_add_u32 v12, v0, 2, 0
	s_and_saveexec_b32 s4, vcc_lo
	s_cbranch_execz .LBB30_7
; %bb.1:
	v_lshl_add_u32 v1, v0, 2, 0
	s_mov_b32 s5, 0
	s_mov_b32 s2, 0
	s_branch .LBB30_3
.LBB30_2:                               ;   in Loop: Header=BB30_3 Depth=1
	s_or_b32 exec_lo, exec_lo, s6
	s_add_co_i32 s2, s2, 2
	v_add_nc_u32_e32 v1, 0x800, v1
	v_cmp_eq_u32_e64 s3, 2, s2
	s_or_b32 s5, s3, s5
	s_delay_alu instid0(SALU_CYCLE_1)
	s_and_not1_b32 exec_lo, exec_lo, s5
	s_cbranch_execz .LBB30_7
.LBB30_3:                               ; =>This Inner Loop Header: Depth=1
	s_mov_b32 s3, s2
	s_delay_alu instid0(SALU_CYCLE_1) | instskip(NEXT) | instid1(SALU_CYCLE_1)
	s_or_b64 s[6:7], s[2:3], 0x100000000
	v_cmp_le_u32_e64 s3, s7, 1
	v_cmp_le_u32_e64 s7, s6, 1
	s_and_saveexec_b32 s6, s7
	s_cbranch_execz .LBB30_5
; %bb.4:                                ;   in Loop: Header=BB30_3 Depth=1
	s_wait_kmcnt 0x0
	v_mov_b32_e32 v2, s28
	ds_store_b32 v1, v2
.LBB30_5:                               ;   in Loop: Header=BB30_3 Depth=1
	s_or_b32 exec_lo, exec_lo, s6
	s_and_saveexec_b32 s6, s3
	s_cbranch_execz .LBB30_2
; %bb.6:                                ;   in Loop: Header=BB30_3 Depth=1
	s_wait_kmcnt 0x0
	v_mov_b32_e32 v2, s28
	ds_store_b32 v1, v2 offset:1024
	s_branch .LBB30_2
.LBB30_7:
	s_or_b32 exec_lo, exec_lo, s4
	s_clause 0x1
	s_load_b256 s[4:11], s[0:1], 0x38
	s_load_b256 s[12:19], s[0:1], 0x18
	s_wait_dscnt 0x0
	s_barrier_signal -1
	s_barrier_wait -1
	s_wait_kmcnt 0x0
	s_load_b32 s2, s[24:25], 0x0
	s_bfe_u32 s3, ttmp6, 0x4000c
	s_and_b32 s20, ttmp6, 15
	s_add_co_i32 s3, s3, 1
	s_getreg_b32 s21, hwreg(HW_REG_IB_STS2, 6, 4)
	s_mul_i32 s3, ttmp9, s3
	s_load_b32 s29, s[0:1], 0x68
	s_add_co_i32 s20, s20, s3
	s_cmp_eq_u32 s21, 0
	v_lshrrev_b32_e32 v2, 5, v0
	s_cselect_b32 s3, ttmp9, s20
	s_wait_kmcnt 0x0
	s_add_co_i32 s2, s2, s3
	s_load_b128 s[20:23], s[0:1], 0x58
	s_load_b32 s24, s[26:27], s2 offset:0x0 scale_offset
	s_wait_xcnt 0x0
	s_mov_b32 s1, 0
	s_bitcmp0_b32 s29, 0
	s_cbranch_scc1 .LBB30_23
; %bb.8:
	s_wait_kmcnt 0x0
	s_ashr_i32 s25, s24, 31
	v_mov_b32_e32 v3, 0
	s_lshl_b64 s[2:3], s[24:25], 3
	s_mov_b32 s0, s20
	s_add_nc_u64 s[2:3], s[12:13], s[2:3]
	s_delay_alu instid0(VALU_DEP_1) | instskip(SKIP_2) | instid1(VALU_DEP_1)
	v_sub_nc_u64_e64 v[4:5], v[2:3], s[0:1]
	s_load_b128 s[36:39], s[2:3], 0x0
	s_wait_kmcnt 0x0
	v_add_nc_u64_e32 v[4:5], s[36:37], v[4:5]
	s_sub_nc_u64 s[2:3], s[38:39], s[0:1]
	s_mov_b32 s1, exec_lo
	s_delay_alu instid0(VALU_DEP_1)
	v_cmpx_gt_i64_e64 s[2:3], v[4:5]
	s_cbranch_execz .LBB30_22
; %bb.9:
	v_dual_mov_b32 v7, v3 :: v_dual_bitop2_b32 v6, 31, v0 bitop3:0x40
	s_mov_b32 s13, 0
	s_mov_b32 s12, s21
	;; [unrolled: 1-line block ×3, first 2 shown]
	s_delay_alu instid0(VALU_DEP_1)
	v_sub_nc_u64_e64 v[6:7], v[6:7], s[12:13]
	s_branch .LBB30_11
.LBB30_10:                              ;   in Loop: Header=BB30_11 Depth=1
	s_or_b32 exec_lo, exec_lo, s26
	v_add_nc_u64_e32 v[4:5], 8, v[4:5]
	s_delay_alu instid0(VALU_DEP_1) | instskip(SKIP_1) | instid1(SALU_CYCLE_1)
	v_cmp_le_i64_e64 s0, s[2:3], v[4:5]
	s_or_b32 s25, s0, s25
	s_and_not1_b32 exec_lo, exec_lo, s25
	s_cbranch_execz .LBB30_22
.LBB30_11:                              ; =>This Loop Header: Depth=1
                                        ;     Child Loop BB30_14 Depth 2
                                        ;       Child Loop BB30_17 Depth 3
	v_lshl_add_u64 v[8:9], v[4:5], 2, s[14:15]
	s_mov_b32 s26, exec_lo
	global_load_b32 v1, v[8:9], off
	s_wait_loadcnt 0x0
	v_subrev_nc_u32_e32 v8, s20, v1
	s_delay_alu instid0(VALU_DEP_1) | instskip(NEXT) | instid1(VALU_DEP_1)
	v_ashrrev_i32_e32 v9, 31, v8
	v_lshl_add_u64 v[8:9], v[8:9], 3, s[16:17]
	global_load_b128 v[14:17], v[8:9], off
	s_wait_loadcnt 0x0
	v_sub_nc_u64_e64 v[8:9], v[16:17], s[12:13]
	v_add_nc_u64_e32 v[10:11], v[14:15], v[6:7]
	s_delay_alu instid0(VALU_DEP_1)
	v_cmpx_lt_i64_e64 v[10:11], v[8:9]
	s_cbranch_execz .LBB30_10
; %bb.12:                               ;   in Loop: Header=BB30_11 Depth=1
	s_mov_b32 s27, 0
	s_branch .LBB30_14
.LBB30_13:                              ;   in Loop: Header=BB30_14 Depth=2
	s_or_b32 exec_lo, exec_lo, s30
	v_add_nc_u64_e32 v[10:11], 32, v[10:11]
	s_delay_alu instid0(VALU_DEP_1) | instskip(SKIP_1) | instid1(SALU_CYCLE_1)
	v_cmp_ge_i64_e64 s0, v[10:11], v[8:9]
	s_or_b32 s27, s0, s27
	s_and_not1_b32 exec_lo, exec_lo, s27
	s_cbranch_execz .LBB30_10
.LBB30_14:                              ;   Parent Loop BB30_11 Depth=1
                                        ; =>  This Loop Header: Depth=2
                                        ;       Child Loop BB30_17 Depth 3
	v_lshl_add_u64 v[14:15], v[10:11], 2, s[18:19]
	s_mov_b32 s30, 0
                                        ; implicit-def: $sgpr31
	global_load_b32 v1, v[14:15], off
	s_wait_loadcnt 0x0
	v_subrev_nc_u32_e32 v1, s21, v1
	s_delay_alu instid0(VALU_DEP_1) | instskip(NEXT) | instid1(VALU_DEP_1)
	v_mul_lo_u32 v3, 0x89, v1
	v_and_b32_e32 v3, 0x1ff, v3
	s_branch .LBB30_17
.LBB30_15:                              ;   in Loop: Header=BB30_17 Depth=3
	s_or_b32 exec_lo, exec_lo, s34
	s_delay_alu instid0(SALU_CYCLE_1) | instskip(SKIP_1) | instid1(SALU_CYCLE_1)
	s_and_not1_b32 s31, s31, exec_lo
	s_and_b32 s0, s0, exec_lo
	s_or_b32 s31, s31, s0
.LBB30_16:                              ;   in Loop: Header=BB30_17 Depth=3
	s_or_b32 exec_lo, exec_lo, s33
	s_xor_b32 s0, s31, -1
	s_delay_alu instid0(SALU_CYCLE_1) | instskip(NEXT) | instid1(SALU_CYCLE_1)
	s_and_b32 s0, exec_lo, s0
	s_or_b32 s30, s0, s30
	s_delay_alu instid0(SALU_CYCLE_1)
	s_and_not1_b32 exec_lo, exec_lo, s30
	s_cbranch_execz .LBB30_13
.LBB30_17:                              ;   Parent Loop BB30_11 Depth=1
                                        ;     Parent Loop BB30_14 Depth=2
                                        ; =>    This Inner Loop Header: Depth=3
	s_delay_alu instid0(VALU_DEP_1)
	v_lshl_add_u32 v13, v3, 2, 0
	s_and_not1_b32 s31, s31, exec_lo
	s_mov_b32 s33, exec_lo
	ds_load_b32 v14, v13
	s_wait_dscnt 0x0
	v_cmpx_ne_u32_e64 v14, v1
	s_cbranch_execz .LBB30_16
; %bb.18:                               ;   in Loop: Header=BB30_17 Depth=3
	v_cmp_ne_u32_e64 s0, s28, v14
	s_and_saveexec_b32 s34, s0
	s_delay_alu instid0(SALU_CYCLE_1)
	s_xor_b32 s0, exec_lo, s34
; %bb.19:                               ;   in Loop: Header=BB30_17 Depth=3
	v_add_nc_u32_e32 v3, 1, v3
                                        ; implicit-def: $vgpr13
	s_delay_alu instid0(VALU_DEP_1)
	v_and_b32_e32 v3, 0x1ff, v3
; %bb.20:                               ;   in Loop: Header=BB30_17 Depth=3
	s_or_saveexec_b32 s34, s0
	s_mov_b32 s0, -1
	s_xor_b32 exec_lo, exec_lo, s34
	s_cbranch_execz .LBB30_15
; %bb.21:                               ;   in Loop: Header=BB30_17 Depth=3
	v_mov_b32_e32 v14, s28
	ds_cmpstore_rtn_b32 v13, v13, v1, v14
	s_wait_dscnt 0x0
	v_cmp_ne_u32_e64 s0, s28, v13
	s_or_not1_b32 s0, s0, exec_lo
	s_branch .LBB30_15
.LBB30_22:
	s_or_b32 exec_lo, exec_lo, s1
.LBB30_23:
	s_bfe_u32 s0, s29, 0x10008
	s_delay_alu instid0(SALU_CYCLE_1)
	s_cmp_eq_u32 s0, 0
	s_cbranch_scc1 .LBB30_26
; %bb.24:
	s_wait_kmcnt 0x0
	s_ashr_i32 s25, s24, 31
	v_mov_b32_e32 v1, 0
	s_lshl_b64 s[0:1], s[24:25], 3
	s_delay_alu instid0(SALU_CYCLE_1)
	s_add_nc_u64 s[0:1], s[4:5], s[0:1]
	s_mov_b32 s4, exec_lo
	s_load_b128 s[12:15], s[0:1], 0x0
	s_wait_xcnt 0x0
	s_mov_b32 s1, 0
	s_mov_b32 s0, s23
	s_delay_alu instid0(SALU_CYCLE_1) | instskip(SKIP_1) | instid1(VALU_DEP_1)
	v_sub_nc_u64_e64 v[4:5], v[0:1], s[0:1]
	s_wait_kmcnt 0x0
	v_add_nc_u64_e32 v[4:5], s[12:13], v[4:5]
	s_sub_nc_u64 s[2:3], s[14:15], s[0:1]
	s_delay_alu instid0(VALU_DEP_1) | instid1(SALU_CYCLE_1)
	v_cmpx_gt_i64_e64 s[2:3], v[4:5]
	s_cbranch_execnz .LBB30_48
.LBB30_25:
	s_or_b32 exec_lo, exec_lo, s4
.LBB30_26:
	s_barrier_signal -1
	s_barrier_wait -1
	s_and_saveexec_b32 s12, vcc_lo
	s_cbranch_execz .LBB30_56
; %bb.27:
	v_mbcnt_lo_u32_b32 v4, -1, 0
	v_mov_b32_e32 v1, 0
	v_lshl_add_u32 v3, v2, 2, 0
	v_cmp_lt_u32_e64 s0, 31, v0
	v_cmp_lt_u32_e64 s1, 63, v0
	v_xor_b32_e32 v2, 31, v4
	v_cmp_lt_u32_e64 s2, 0x5f, v0
	v_cmp_lt_u32_e64 s3, 0x7f, v0
	;; [unrolled: 1-line block ×4, first 2 shown]
	v_lshrrev_b32_e64 v2, v2, -1
	v_cmp_lt_u32_e64 s6, 0xdf, v0
	v_or_b32_e32 v4, 0xffffff00, v0
	v_mov_b32_e32 v5, 0
	s_mov_b32 s13, 0
	v_cmp_eq_u32_e32 vcc_lo, 0xff, v0
	s_branch .LBB30_29
.LBB30_28:                              ;   in Loop: Header=BB30_29 Depth=1
	s_or_b32 exec_lo, exec_lo, s7
	s_wait_dscnt 0x0
	s_barrier_signal -1
	s_barrier_wait -1
	ds_load_b32 v6, v1 offset:2076
	v_add_co_u32 v4, s7, 0x100, v4
	s_xor_b32 s7, s7, -1
	v_add_nc_u32_e32 v12, 0x400, v12
	s_and_b32 s7, exec_lo, s7
	s_delay_alu instid0(SALU_CYCLE_1)
	s_or_b32 s13, s7, s13
	s_wait_dscnt 0x0
	v_add_nc_u32_e32 v5, v6, v5
	s_and_not1_b32 exec_lo, exec_lo, s13
	s_cbranch_execz .LBB30_56
.LBB30_29:                              ; =>This Inner Loop Header: Depth=1
	ds_load_b32 v6, v12
	s_wait_dscnt 0x0
	s_barrier_signal -1
	s_barrier_wait -1
	v_cmp_gt_i32_e64 s7, s28, v6
	s_bcnt1_i32_b32 s14, s7
	s_delay_alu instid0(SALU_CYCLE_1) | instskip(NEXT) | instid1(VALU_DEP_1)
	v_dual_mov_b32 v8, s14 :: v_dual_bitop2_b32 v7, s7, v2 bitop3:0x40
	v_bcnt_u32_b32 v7, v7, 0
	ds_store_b32 v3, v8 offset:2048
	s_wait_dscnt 0x0
	s_barrier_signal -1
	s_barrier_wait -1
	s_and_saveexec_b32 s14, s0
	s_cbranch_execnz .LBB30_38
; %bb.30:                               ;   in Loop: Header=BB30_29 Depth=1
	s_or_b32 exec_lo, exec_lo, s14
	s_and_saveexec_b32 s14, s1
	s_cbranch_execnz .LBB30_39
.LBB30_31:                              ;   in Loop: Header=BB30_29 Depth=1
	s_or_b32 exec_lo, exec_lo, s14
	s_and_saveexec_b32 s14, s2
	s_cbranch_execnz .LBB30_40
.LBB30_32:                              ;   in Loop: Header=BB30_29 Depth=1
	s_or_b32 exec_lo, exec_lo, s14
	s_and_saveexec_b32 s14, s3
	s_cbranch_execnz .LBB30_41
.LBB30_33:                              ;   in Loop: Header=BB30_29 Depth=1
	s_or_b32 exec_lo, exec_lo, s14
	s_and_saveexec_b32 s14, s4
	s_cbranch_execnz .LBB30_42
.LBB30_34:                              ;   in Loop: Header=BB30_29 Depth=1
	s_or_b32 exec_lo, exec_lo, s14
	s_and_saveexec_b32 s14, s5
	s_cbranch_execnz .LBB30_43
.LBB30_35:                              ;   in Loop: Header=BB30_29 Depth=1
	s_or_b32 exec_lo, exec_lo, s14
	s_and_saveexec_b32 s14, s6
	s_cbranch_execnz .LBB30_44
.LBB30_36:                              ;   in Loop: Header=BB30_29 Depth=1
	s_or_b32 exec_lo, exec_lo, s14
	s_and_saveexec_b32 s14, s7
	s_cbranch_execnz .LBB30_45
.LBB30_37:                              ;   in Loop: Header=BB30_29 Depth=1
	s_or_b32 exec_lo, exec_lo, s14
	s_and_saveexec_b32 s7, vcc_lo
	s_cbranch_execz .LBB30_28
	s_branch .LBB30_46
.LBB30_38:                              ;   in Loop: Header=BB30_29 Depth=1
	ds_load_b32 v8, v1 offset:2048
	s_wait_dscnt 0x0
	v_add_nc_u32_e32 v7, v8, v7
	s_or_b32 exec_lo, exec_lo, s14
	s_and_saveexec_b32 s14, s1
	s_cbranch_execz .LBB30_31
.LBB30_39:                              ;   in Loop: Header=BB30_29 Depth=1
	ds_load_b32 v8, v1 offset:2052
	s_wait_dscnt 0x0
	v_add_nc_u32_e32 v7, v8, v7
	s_or_b32 exec_lo, exec_lo, s14
	s_and_saveexec_b32 s14, s2
	s_cbranch_execz .LBB30_32
.LBB30_40:                              ;   in Loop: Header=BB30_29 Depth=1
	ds_load_b32 v8, v1 offset:2056
	s_wait_dscnt 0x0
	v_add_nc_u32_e32 v7, v8, v7
	s_or_b32 exec_lo, exec_lo, s14
	s_and_saveexec_b32 s14, s3
	s_cbranch_execz .LBB30_33
.LBB30_41:                              ;   in Loop: Header=BB30_29 Depth=1
	ds_load_b32 v8, v1 offset:2060
	s_wait_dscnt 0x0
	v_add_nc_u32_e32 v7, v8, v7
	s_or_b32 exec_lo, exec_lo, s14
	s_and_saveexec_b32 s14, s4
	s_cbranch_execz .LBB30_34
.LBB30_42:                              ;   in Loop: Header=BB30_29 Depth=1
	ds_load_b32 v8, v1 offset:2064
	s_wait_dscnt 0x0
	v_add_nc_u32_e32 v7, v8, v7
	s_or_b32 exec_lo, exec_lo, s14
	s_and_saveexec_b32 s14, s5
	s_cbranch_execz .LBB30_35
.LBB30_43:                              ;   in Loop: Header=BB30_29 Depth=1
	ds_load_b32 v8, v1 offset:2068
	s_wait_dscnt 0x0
	v_add_nc_u32_e32 v7, v8, v7
	s_or_b32 exec_lo, exec_lo, s14
	s_and_saveexec_b32 s14, s6
	s_cbranch_execz .LBB30_36
.LBB30_44:                              ;   in Loop: Header=BB30_29 Depth=1
	ds_load_b32 v8, v1 offset:2072
	s_wait_dscnt 0x0
	v_add_nc_u32_e32 v7, v8, v7
	s_or_b32 exec_lo, exec_lo, s14
	s_and_saveexec_b32 s14, s7
	s_cbranch_execz .LBB30_37
.LBB30_45:                              ;   in Loop: Header=BB30_29 Depth=1
	s_delay_alu instid0(VALU_DEP_1) | instskip(NEXT) | instid1(VALU_DEP_1)
	v_dual_lshlrev_b32 v8, 2, v5 :: v_dual_lshlrev_b32 v9, 2, v7
	v_add_nc_u32_e32 v8, 0, v8
	s_delay_alu instid0(VALU_DEP_1)
	v_add3_u32 v8, v8, v9, -4
	ds_store_b32 v8, v6
	s_or_b32 exec_lo, exec_lo, s14
	s_and_saveexec_b32 s7, vcc_lo
	s_cbranch_execz .LBB30_28
.LBB30_46:                              ;   in Loop: Header=BB30_29 Depth=1
	ds_store_b32 v1, v7 offset:2076
	s_branch .LBB30_28
.LBB30_47:                              ;   in Loop: Header=BB30_48 Depth=1
	s_or_b32 exec_lo, exec_lo, s5
	v_add_nc_u64_e32 v[4:5], 0x100, v[4:5]
	s_delay_alu instid0(VALU_DEP_1) | instskip(SKIP_1) | instid1(SALU_CYCLE_1)
	v_cmp_le_i64_e64 s0, s[2:3], v[4:5]
	s_or_b32 s1, s0, s1
	s_and_not1_b32 exec_lo, exec_lo, s1
	s_cbranch_execz .LBB30_25
.LBB30_48:                              ; =>This Loop Header: Depth=1
                                        ;     Child Loop BB30_51 Depth 2
	v_lshl_add_u64 v[6:7], v[4:5], 2, s[6:7]
	s_mov_b32 s5, 0
                                        ; implicit-def: $sgpr12
	global_load_b32 v1, v[6:7], off
	s_wait_loadcnt 0x0
	v_subrev_nc_u32_e32 v1, s23, v1
	s_delay_alu instid0(VALU_DEP_1) | instskip(NEXT) | instid1(VALU_DEP_1)
	v_mul_lo_u32 v3, 0x89, v1
	v_and_b32_e32 v3, 0x1ff, v3
	s_branch .LBB30_51
.LBB30_49:                              ;   in Loop: Header=BB30_51 Depth=2
	s_or_b32 exec_lo, exec_lo, s14
	s_delay_alu instid0(SALU_CYCLE_1) | instskip(SKIP_1) | instid1(SALU_CYCLE_1)
	s_and_not1_b32 s12, s12, exec_lo
	s_and_b32 s0, s0, exec_lo
	s_or_b32 s12, s12, s0
.LBB30_50:                              ;   in Loop: Header=BB30_51 Depth=2
	s_or_b32 exec_lo, exec_lo, s13
	s_xor_b32 s0, s12, -1
	s_delay_alu instid0(SALU_CYCLE_1) | instskip(NEXT) | instid1(SALU_CYCLE_1)
	s_and_b32 s0, exec_lo, s0
	s_or_b32 s5, s0, s5
	s_delay_alu instid0(SALU_CYCLE_1)
	s_and_not1_b32 exec_lo, exec_lo, s5
	s_cbranch_execz .LBB30_47
.LBB30_51:                              ;   Parent Loop BB30_48 Depth=1
                                        ; =>  This Inner Loop Header: Depth=2
	s_delay_alu instid0(VALU_DEP_1)
	v_lshl_add_u32 v6, v3, 2, 0
	s_and_not1_b32 s12, s12, exec_lo
	s_mov_b32 s13, exec_lo
	ds_load_b32 v7, v6
	s_wait_dscnt 0x0
	v_cmpx_ne_u32_e64 v7, v1
	s_cbranch_execz .LBB30_50
; %bb.52:                               ;   in Loop: Header=BB30_51 Depth=2
	v_cmp_ne_u32_e64 s0, s28, v7
	s_and_saveexec_b32 s14, s0
	s_delay_alu instid0(SALU_CYCLE_1)
	s_xor_b32 s0, exec_lo, s14
; %bb.53:                               ;   in Loop: Header=BB30_51 Depth=2
	v_add_nc_u32_e32 v3, 1, v3
                                        ; implicit-def: $vgpr6
	s_delay_alu instid0(VALU_DEP_1)
	v_and_b32_e32 v3, 0x1ff, v3
; %bb.54:                               ;   in Loop: Header=BB30_51 Depth=2
	s_or_saveexec_b32 s14, s0
	s_mov_b32 s0, -1
	s_xor_b32 exec_lo, exec_lo, s14
	s_cbranch_execz .LBB30_49
; %bb.55:                               ;   in Loop: Header=BB30_51 Depth=2
	v_mov_b32_e32 v7, s28
	ds_cmpstore_rtn_b32 v6, v6, v1, v7
	s_wait_dscnt 0x0
	v_cmp_ne_u32_e64 s0, s28, v6
	s_or_not1_b32 s0, s0, exec_lo
	s_branch .LBB30_49
.LBB30_56:
	s_or_b32 exec_lo, exec_lo, s12
	s_wait_kmcnt 0x0
	s_ashr_i32 s25, s24, 31
	s_delay_alu instid0(SALU_CYCLE_1) | instskip(NEXT) | instid1(SALU_CYCLE_1)
	s_lshl_b64 s[0:1], s[24:25], 3
	s_add_nc_u64 s[4:5], s[8:9], s[0:1]
	s_load_b128 s[0:3], s[4:5], 0x0
	s_wait_xcnt 0x0
	s_mov_b32 s4, exec_lo
	s_wait_kmcnt 0x0
	s_sub_co_i32 s3, s2, s0
	s_delay_alu instid0(SALU_CYCLE_1)
	v_cmpx_gt_i32_e64 s3, v0
	s_cbranch_execz .LBB30_66
; %bb.57:
	s_sub_co_i32 s4, s0, s2
	s_and_b32 s2, s3, 7
	s_cmp_lt_u32 s4, -7
	s_mov_b32 s23, 0
	s_cselect_b32 s4, -1, 0
	s_and_b32 s5, s3, -8
	s_cmp_lg_u32 s2, 0
	s_sub_nc_u64 s[0:1], s[0:1], s[22:23]
	s_cselect_b32 s6, -1, 0
	s_mov_b32 s7, 0
	s_branch .LBB30_59
.LBB30_58:                              ;   in Loop: Header=BB30_59 Depth=1
	v_add_nc_u32_e32 v0, 0x100, v0
	s_wait_dscnt 0x0
	v_add_nc_u32_e32 v1, s22, v1
	s_delay_alu instid0(VALU_DEP_3) | instskip(NEXT) | instid1(VALU_DEP_3)
	v_lshl_add_u64 v[2:3], v[2:3], 2, s[10:11]
	v_cmp_le_i32_e32 vcc_lo, s3, v0
	global_store_b32 v[2:3], v1, off
	s_or_b32 s7, vcc_lo, s7
	s_wait_xcnt 0x0
	s_and_not1_b32 exec_lo, exec_lo, s7
	s_cbranch_execz .LBB30_66
.LBB30_59:                              ; =>This Loop Header: Depth=1
                                        ;     Child Loop BB30_61 Depth 2
                                        ;     Child Loop BB30_65 Depth 2
	v_lshl_add_u32 v1, v0, 2, 0
	v_mov_b64_e32 v[2:3], s[0:1]
	s_and_not1_b32 vcc_lo, exec_lo, s4
	s_mov_b32 s8, 0
	ds_load_b32 v1, v1
	s_cbranch_vccnz .LBB30_63
; %bb.60:                               ;   in Loop: Header=BB30_59 Depth=1
	v_mov_b64_e32 v[2:3], s[0:1]
	s_mov_b32 s9, 0
.LBB30_61:                              ;   Parent Loop BB30_59 Depth=1
                                        ; =>  This Inner Loop Header: Depth=2
	s_delay_alu instid0(SALU_CYCLE_1)
	v_dual_mov_b32 v8, s9 :: v_dual_mov_b32 v9, s23
	v_mov_b32_e32 v15, s23
	s_add_co_i32 s8, s8, 8
	s_add_co_i32 s9, s9, 32
	ds_load_2addr_b32 v[4:5], v8 offset1:1
	ds_load_2addr_b32 v[6:7], v8 offset0:2 offset1:3
	ds_load_2addr_b32 v[10:11], v8 offset0:4 offset1:5
	;; [unrolled: 1-line block ×3, first 2 shown]
	s_cmp_eq_u32 s5, s8
	s_wait_dscnt 0x3
	v_cmp_gt_i32_e32 vcc_lo, v1, v4
	v_cndmask_b32_e64 v8, 0, 1, vcc_lo
	v_cmp_gt_i32_e32 vcc_lo, v1, v5
	v_mov_b32_e32 v5, s23
	s_delay_alu instid0(VALU_DEP_3) | instskip(SKIP_4) | instid1(VALU_DEP_3)
	v_add_nc_u64_e32 v[2:3], v[2:3], v[8:9]
	v_cndmask_b32_e64 v14, 0, 1, vcc_lo
	s_wait_dscnt 0x2
	v_cmp_gt_i32_e32 vcc_lo, v1, v6
	v_cndmask_b32_e64 v4, 0, 1, vcc_lo
	v_add_nc_u64_e32 v[2:3], v[2:3], v[14:15]
	v_cmp_gt_i32_e32 vcc_lo, v1, v7
	v_mov_b32_e32 v7, s23
	v_cndmask_b32_e64 v8, 0, 1, vcc_lo
	s_delay_alu instid0(VALU_DEP_4) | instskip(SKIP_3) | instid1(VALU_DEP_3)
	v_add_nc_u64_e32 v[2:3], v[2:3], v[4:5]
	s_wait_dscnt 0x1
	v_cmp_gt_i32_e32 vcc_lo, v1, v10
	v_cndmask_b32_e64 v4, 0, 1, vcc_lo
	v_add_nc_u64_e32 v[2:3], v[2:3], v[8:9]
	v_cmp_gt_i32_e32 vcc_lo, v1, v11
	v_cndmask_b32_e64 v6, 0, 1, vcc_lo
	s_delay_alu instid0(VALU_DEP_3) | instskip(SKIP_3) | instid1(VALU_DEP_3)
	v_add_nc_u64_e32 v[2:3], v[2:3], v[4:5]
	s_wait_dscnt 0x0
	v_cmp_gt_i32_e32 vcc_lo, v1, v12
	v_cndmask_b32_e64 v4, 0, 1, vcc_lo
	v_add_nc_u64_e32 v[2:3], v[2:3], v[6:7]
	v_cmp_gt_i32_e32 vcc_lo, v1, v13
	v_cndmask_b32_e64 v6, 0, 1, vcc_lo
	s_delay_alu instid0(VALU_DEP_3) | instskip(NEXT) | instid1(VALU_DEP_1)
	v_add_nc_u64_e32 v[2:3], v[2:3], v[4:5]
	v_add_nc_u64_e32 v[2:3], v[2:3], v[6:7]
	s_cbranch_scc0 .LBB30_61
; %bb.62:                               ;   in Loop: Header=BB30_59 Depth=1
	s_mov_b32 s8, s5
.LBB30_63:                              ;   in Loop: Header=BB30_59 Depth=1
	s_and_not1_b32 vcc_lo, exec_lo, s6
	s_cbranch_vccnz .LBB30_58
; %bb.64:                               ;   in Loop: Header=BB30_59 Depth=1
	s_lshl_b32 s8, s8, 2
	s_mov_b32 s9, s2
	s_add_co_i32 s8, s8, 0
.LBB30_65:                              ;   Parent Loop BB30_59 Depth=1
                                        ; =>  This Inner Loop Header: Depth=2
	s_delay_alu instid0(SALU_CYCLE_1)
	v_dual_mov_b32 v4, s8 :: v_dual_mov_b32 v5, s23
	s_add_co_i32 s9, s9, -1
	s_add_co_i32 s8, s8, 4
	s_cmp_lg_u32 s9, 0
	ds_load_b32 v4, v4
	s_wait_dscnt 0x0
	v_cmp_gt_i32_e32 vcc_lo, v1, v4
	v_cndmask_b32_e64 v4, 0, 1, vcc_lo
	s_delay_alu instid0(VALU_DEP_1)
	v_add_nc_u64_e32 v[2:3], v[2:3], v[4:5]
	s_cbranch_scc1 .LBB30_65
	s_branch .LBB30_58
.LBB30_66:
	s_endpgm
	.section	.rodata,"a",@progbits
	.p2align	6, 0x0
	.amdhsa_kernel _ZN9rocsparseL35csrgemm_symbolic_fill_block_per_rowILj256ELj32ELj512ELj137ELj32EliEEvT5_PKS1_S3_PKT4_S3_S6_S3_S6_S3_S6_PS1_21rocsparse_index_base_S8_S8_S8_bb
		.amdhsa_group_segment_fixed_size 0
		.amdhsa_private_segment_fixed_size 0
		.amdhsa_kernarg_size 108
		.amdhsa_user_sgpr_count 2
		.amdhsa_user_sgpr_dispatch_ptr 0
		.amdhsa_user_sgpr_queue_ptr 0
		.amdhsa_user_sgpr_kernarg_segment_ptr 1
		.amdhsa_user_sgpr_dispatch_id 0
		.amdhsa_user_sgpr_kernarg_preload_length 0
		.amdhsa_user_sgpr_kernarg_preload_offset 0
		.amdhsa_user_sgpr_private_segment_size 0
		.amdhsa_wavefront_size32 1
		.amdhsa_uses_dynamic_stack 0
		.amdhsa_enable_private_segment 0
		.amdhsa_system_sgpr_workgroup_id_x 1
		.amdhsa_system_sgpr_workgroup_id_y 0
		.amdhsa_system_sgpr_workgroup_id_z 0
		.amdhsa_system_sgpr_workgroup_info 0
		.amdhsa_system_vgpr_workitem_id 0
		.amdhsa_next_free_vgpr 18
		.amdhsa_next_free_sgpr 40
		.amdhsa_named_barrier_count 0
		.amdhsa_reserve_vcc 1
		.amdhsa_float_round_mode_32 0
		.amdhsa_float_round_mode_16_64 0
		.amdhsa_float_denorm_mode_32 3
		.amdhsa_float_denorm_mode_16_64 3
		.amdhsa_fp16_overflow 0
		.amdhsa_memory_ordered 1
		.amdhsa_forward_progress 1
		.amdhsa_inst_pref_size 20
		.amdhsa_round_robin_scheduling 0
		.amdhsa_exception_fp_ieee_invalid_op 0
		.amdhsa_exception_fp_denorm_src 0
		.amdhsa_exception_fp_ieee_div_zero 0
		.amdhsa_exception_fp_ieee_overflow 0
		.amdhsa_exception_fp_ieee_underflow 0
		.amdhsa_exception_fp_ieee_inexact 0
		.amdhsa_exception_int_div_zero 0
	.end_amdhsa_kernel
	.section	.text._ZN9rocsparseL35csrgemm_symbolic_fill_block_per_rowILj256ELj32ELj512ELj137ELj32EliEEvT5_PKS1_S3_PKT4_S3_S6_S3_S6_S3_S6_PS1_21rocsparse_index_base_S8_S8_S8_bb,"axG",@progbits,_ZN9rocsparseL35csrgemm_symbolic_fill_block_per_rowILj256ELj32ELj512ELj137ELj32EliEEvT5_PKS1_S3_PKT4_S3_S6_S3_S6_S3_S6_PS1_21rocsparse_index_base_S8_S8_S8_bb,comdat
.Lfunc_end30:
	.size	_ZN9rocsparseL35csrgemm_symbolic_fill_block_per_rowILj256ELj32ELj512ELj137ELj32EliEEvT5_PKS1_S3_PKT4_S3_S6_S3_S6_S3_S6_PS1_21rocsparse_index_base_S8_S8_S8_bb, .Lfunc_end30-_ZN9rocsparseL35csrgemm_symbolic_fill_block_per_rowILj256ELj32ELj512ELj137ELj32EliEEvT5_PKS1_S3_PKT4_S3_S6_S3_S6_S3_S6_PS1_21rocsparse_index_base_S8_S8_S8_bb
                                        ; -- End function
	.set _ZN9rocsparseL35csrgemm_symbolic_fill_block_per_rowILj256ELj32ELj512ELj137ELj32EliEEvT5_PKS1_S3_PKT4_S3_S6_S3_S6_S3_S6_PS1_21rocsparse_index_base_S8_S8_S8_bb.num_vgpr, 18
	.set _ZN9rocsparseL35csrgemm_symbolic_fill_block_per_rowILj256ELj32ELj512ELj137ELj32EliEEvT5_PKS1_S3_PKT4_S3_S6_S3_S6_S3_S6_PS1_21rocsparse_index_base_S8_S8_S8_bb.num_agpr, 0
	.set _ZN9rocsparseL35csrgemm_symbolic_fill_block_per_rowILj256ELj32ELj512ELj137ELj32EliEEvT5_PKS1_S3_PKT4_S3_S6_S3_S6_S3_S6_PS1_21rocsparse_index_base_S8_S8_S8_bb.numbered_sgpr, 40
	.set _ZN9rocsparseL35csrgemm_symbolic_fill_block_per_rowILj256ELj32ELj512ELj137ELj32EliEEvT5_PKS1_S3_PKT4_S3_S6_S3_S6_S3_S6_PS1_21rocsparse_index_base_S8_S8_S8_bb.num_named_barrier, 0
	.set _ZN9rocsparseL35csrgemm_symbolic_fill_block_per_rowILj256ELj32ELj512ELj137ELj32EliEEvT5_PKS1_S3_PKT4_S3_S6_S3_S6_S3_S6_PS1_21rocsparse_index_base_S8_S8_S8_bb.private_seg_size, 0
	.set _ZN9rocsparseL35csrgemm_symbolic_fill_block_per_rowILj256ELj32ELj512ELj137ELj32EliEEvT5_PKS1_S3_PKT4_S3_S6_S3_S6_S3_S6_PS1_21rocsparse_index_base_S8_S8_S8_bb.uses_vcc, 1
	.set _ZN9rocsparseL35csrgemm_symbolic_fill_block_per_rowILj256ELj32ELj512ELj137ELj32EliEEvT5_PKS1_S3_PKT4_S3_S6_S3_S6_S3_S6_PS1_21rocsparse_index_base_S8_S8_S8_bb.uses_flat_scratch, 0
	.set _ZN9rocsparseL35csrgemm_symbolic_fill_block_per_rowILj256ELj32ELj512ELj137ELj32EliEEvT5_PKS1_S3_PKT4_S3_S6_S3_S6_S3_S6_PS1_21rocsparse_index_base_S8_S8_S8_bb.has_dyn_sized_stack, 0
	.set _ZN9rocsparseL35csrgemm_symbolic_fill_block_per_rowILj256ELj32ELj512ELj137ELj32EliEEvT5_PKS1_S3_PKT4_S3_S6_S3_S6_S3_S6_PS1_21rocsparse_index_base_S8_S8_S8_bb.has_recursion, 0
	.set _ZN9rocsparseL35csrgemm_symbolic_fill_block_per_rowILj256ELj32ELj512ELj137ELj32EliEEvT5_PKS1_S3_PKT4_S3_S6_S3_S6_S3_S6_PS1_21rocsparse_index_base_S8_S8_S8_bb.has_indirect_call, 0
	.section	.AMDGPU.csdata,"",@progbits
; Kernel info:
; codeLenInByte = 2448
; TotalNumSgprs: 42
; NumVgprs: 18
; ScratchSize: 0
; MemoryBound: 0
; FloatMode: 240
; IeeeMode: 1
; LDSByteSize: 0 bytes/workgroup (compile time only)
; SGPRBlocks: 0
; VGPRBlocks: 1
; NumSGPRsForWavesPerEU: 42
; NumVGPRsForWavesPerEU: 18
; NamedBarCnt: 0
; Occupancy: 16
; WaveLimiterHint : 1
; COMPUTE_PGM_RSRC2:SCRATCH_EN: 0
; COMPUTE_PGM_RSRC2:USER_SGPR: 2
; COMPUTE_PGM_RSRC2:TRAP_HANDLER: 0
; COMPUTE_PGM_RSRC2:TGID_X_EN: 1
; COMPUTE_PGM_RSRC2:TGID_Y_EN: 0
; COMPUTE_PGM_RSRC2:TGID_Z_EN: 0
; COMPUTE_PGM_RSRC2:TIDIG_COMP_CNT: 0
	.section	.text._ZN9rocsparseL35csrgemm_symbolic_fill_block_per_rowILj256ELj32ELj512ELj137ELj64EliEEvT5_PKS1_S3_PKT4_S3_S6_S3_S6_S3_S6_PS1_21rocsparse_index_base_S8_S8_S8_bb,"axG",@progbits,_ZN9rocsparseL35csrgemm_symbolic_fill_block_per_rowILj256ELj32ELj512ELj137ELj64EliEEvT5_PKS1_S3_PKT4_S3_S6_S3_S6_S3_S6_PS1_21rocsparse_index_base_S8_S8_S8_bb,comdat
	.globl	_ZN9rocsparseL35csrgemm_symbolic_fill_block_per_rowILj256ELj32ELj512ELj137ELj64EliEEvT5_PKS1_S3_PKT4_S3_S6_S3_S6_S3_S6_PS1_21rocsparse_index_base_S8_S8_S8_bb ; -- Begin function _ZN9rocsparseL35csrgemm_symbolic_fill_block_per_rowILj256ELj32ELj512ELj137ELj64EliEEvT5_PKS1_S3_PKT4_S3_S6_S3_S6_S3_S6_PS1_21rocsparse_index_base_S8_S8_S8_bb
	.p2align	8
	.type	_ZN9rocsparseL35csrgemm_symbolic_fill_block_per_rowILj256ELj32ELj512ELj137ELj64EliEEvT5_PKS1_S3_PKT4_S3_S6_S3_S6_S3_S6_PS1_21rocsparse_index_base_S8_S8_S8_bb,@function
_ZN9rocsparseL35csrgemm_symbolic_fill_block_per_rowILj256ELj32ELj512ELj137ELj64EliEEvT5_PKS1_S3_PKT4_S3_S6_S3_S6_S3_S6_PS1_21rocsparse_index_base_S8_S8_S8_bb: ; @_ZN9rocsparseL35csrgemm_symbolic_fill_block_per_rowILj256ELj32ELj512ELj137ELj64EliEEvT5_PKS1_S3_PKT4_S3_S6_S3_S6_S3_S6_PS1_21rocsparse_index_base_S8_S8_S8_bb
; %bb.0:
	s_clause 0x1
	s_load_b32 s28, s[0:1], 0x0
	s_load_b128 s[24:27], s[0:1], 0x8
	v_cmp_gt_u32_e32 vcc_lo, 0x200, v0
	v_lshl_add_u32 v10, v0, 2, 0
	s_and_saveexec_b32 s4, vcc_lo
	s_cbranch_execz .LBB31_7
; %bb.1:
	v_lshl_add_u32 v1, v0, 2, 0
	s_mov_b32 s5, 0
	s_mov_b32 s2, 0
	s_branch .LBB31_3
.LBB31_2:                               ;   in Loop: Header=BB31_3 Depth=1
	s_or_b32 exec_lo, exec_lo, s6
	s_add_co_i32 s2, s2, 2
	v_add_nc_u32_e32 v1, 0x800, v1
	v_cmp_eq_u32_e64 s3, 2, s2
	s_or_b32 s5, s3, s5
	s_delay_alu instid0(SALU_CYCLE_1)
	s_and_not1_b32 exec_lo, exec_lo, s5
	s_cbranch_execz .LBB31_7
.LBB31_3:                               ; =>This Inner Loop Header: Depth=1
	s_mov_b32 s3, s2
	s_delay_alu instid0(SALU_CYCLE_1) | instskip(NEXT) | instid1(SALU_CYCLE_1)
	s_or_b64 s[6:7], s[2:3], 0x100000000
	v_cmp_le_u32_e64 s3, s7, 1
	v_cmp_le_u32_e64 s7, s6, 1
	s_and_saveexec_b32 s6, s7
	s_cbranch_execz .LBB31_5
; %bb.4:                                ;   in Loop: Header=BB31_3 Depth=1
	s_wait_kmcnt 0x0
	v_mov_b32_e32 v2, s28
	ds_store_b32 v1, v2
.LBB31_5:                               ;   in Loop: Header=BB31_3 Depth=1
	s_or_b32 exec_lo, exec_lo, s6
	s_and_saveexec_b32 s6, s3
	s_cbranch_execz .LBB31_2
; %bb.6:                                ;   in Loop: Header=BB31_3 Depth=1
	s_wait_kmcnt 0x0
	v_mov_b32_e32 v2, s28
	ds_store_b32 v1, v2 offset:1024
	s_branch .LBB31_2
.LBB31_7:
	s_or_b32 exec_lo, exec_lo, s4
	s_clause 0x1
	s_load_b256 s[4:11], s[0:1], 0x38
	s_load_b256 s[12:19], s[0:1], 0x18
	s_wait_dscnt 0x0
	s_barrier_signal -1
	s_barrier_wait -1
	s_wait_kmcnt 0x0
	s_load_b32 s2, s[24:25], 0x0
	s_bfe_u32 s3, ttmp6, 0x4000c
	s_and_b32 s20, ttmp6, 15
	s_add_co_i32 s3, s3, 1
	s_getreg_b32 s21, hwreg(HW_REG_IB_STS2, 6, 4)
	s_mul_i32 s3, ttmp9, s3
	s_load_b32 s29, s[0:1], 0x68
	s_add_co_i32 s20, s20, s3
	s_cmp_eq_u32 s21, 0
	s_cselect_b32 s3, ttmp9, s20
	s_wait_kmcnt 0x0
	s_add_co_i32 s2, s2, s3
	s_load_b128 s[20:23], s[0:1], 0x58
	s_load_b32 s24, s[26:27], s2 offset:0x0 scale_offset
	s_wait_xcnt 0x0
	s_mov_b32 s1, 0
	s_bitcmp0_b32 s29, 0
	s_cbranch_scc1 .LBB31_23
; %bb.8:
	s_wait_kmcnt 0x0
	s_ashr_i32 s25, s24, 31
	v_dual_mov_b32 v5, 0 :: v_dual_lshrrev_b32 v4, 5, v0
	s_lshl_b64 s[2:3], s[24:25], 3
	s_mov_b32 s0, s20
	s_add_nc_u64 s[2:3], s[12:13], s[2:3]
	s_load_b128 s[36:39], s[2:3], 0x0
	v_sub_nc_u64_e64 v[2:3], v[4:5], s[0:1]
	s_wait_kmcnt 0x0
	s_delay_alu instid0(VALU_DEP_1) | instskip(SKIP_2) | instid1(VALU_DEP_1)
	v_add_nc_u64_e32 v[2:3], s[36:37], v[2:3]
	s_sub_nc_u64 s[2:3], s[38:39], s[0:1]
	s_mov_b32 s1, exec_lo
	v_cmpx_gt_i64_e64 s[2:3], v[2:3]
	s_cbranch_execz .LBB31_22
; %bb.9:
	v_and_b32_e32 v4, 31, v0
	s_mov_b32 s13, 0
	s_mov_b32 s12, s21
	;; [unrolled: 1-line block ×3, first 2 shown]
	s_delay_alu instid0(VALU_DEP_1)
	v_sub_nc_u64_e64 v[4:5], v[4:5], s[12:13]
	s_branch .LBB31_11
.LBB31_10:                              ;   in Loop: Header=BB31_11 Depth=1
	s_or_b32 exec_lo, exec_lo, s26
	v_add_nc_u64_e32 v[2:3], 8, v[2:3]
	s_delay_alu instid0(VALU_DEP_1) | instskip(SKIP_1) | instid1(SALU_CYCLE_1)
	v_cmp_le_i64_e64 s0, s[2:3], v[2:3]
	s_or_b32 s25, s0, s25
	s_and_not1_b32 exec_lo, exec_lo, s25
	s_cbranch_execz .LBB31_22
.LBB31_11:                              ; =>This Loop Header: Depth=1
                                        ;     Child Loop BB31_14 Depth 2
                                        ;       Child Loop BB31_17 Depth 3
	v_lshl_add_u64 v[6:7], v[2:3], 2, s[14:15]
	s_mov_b32 s26, exec_lo
	global_load_b32 v1, v[6:7], off
	s_wait_loadcnt 0x0
	v_subrev_nc_u32_e32 v6, s20, v1
	s_delay_alu instid0(VALU_DEP_1) | instskip(NEXT) | instid1(VALU_DEP_1)
	v_ashrrev_i32_e32 v7, 31, v6
	v_lshl_add_u64 v[6:7], v[6:7], 3, s[16:17]
	global_load_b128 v[12:15], v[6:7], off
	s_wait_loadcnt 0x0
	v_sub_nc_u64_e64 v[6:7], v[14:15], s[12:13]
	v_add_nc_u64_e32 v[8:9], v[12:13], v[4:5]
	s_delay_alu instid0(VALU_DEP_1)
	v_cmpx_lt_i64_e64 v[8:9], v[6:7]
	s_cbranch_execz .LBB31_10
; %bb.12:                               ;   in Loop: Header=BB31_11 Depth=1
	s_mov_b32 s27, 0
	s_branch .LBB31_14
.LBB31_13:                              ;   in Loop: Header=BB31_14 Depth=2
	s_or_b32 exec_lo, exec_lo, s30
	v_add_nc_u64_e32 v[8:9], 32, v[8:9]
	s_delay_alu instid0(VALU_DEP_1) | instskip(SKIP_1) | instid1(SALU_CYCLE_1)
	v_cmp_ge_i64_e64 s0, v[8:9], v[6:7]
	s_or_b32 s27, s0, s27
	s_and_not1_b32 exec_lo, exec_lo, s27
	s_cbranch_execz .LBB31_10
.LBB31_14:                              ;   Parent Loop BB31_11 Depth=1
                                        ; =>  This Loop Header: Depth=2
                                        ;       Child Loop BB31_17 Depth 3
	v_lshl_add_u64 v[12:13], v[8:9], 2, s[18:19]
	s_mov_b32 s30, 0
                                        ; implicit-def: $sgpr31
	global_load_b32 v1, v[12:13], off
	s_wait_loadcnt 0x0
	v_subrev_nc_u32_e32 v1, s21, v1
	s_delay_alu instid0(VALU_DEP_1) | instskip(NEXT) | instid1(VALU_DEP_1)
	v_mul_lo_u32 v11, 0x89, v1
	v_and_b32_e32 v11, 0x1ff, v11
	s_branch .LBB31_17
.LBB31_15:                              ;   in Loop: Header=BB31_17 Depth=3
	s_or_b32 exec_lo, exec_lo, s34
	s_delay_alu instid0(SALU_CYCLE_1) | instskip(SKIP_1) | instid1(SALU_CYCLE_1)
	s_and_not1_b32 s31, s31, exec_lo
	s_and_b32 s0, s0, exec_lo
	s_or_b32 s31, s31, s0
.LBB31_16:                              ;   in Loop: Header=BB31_17 Depth=3
	s_or_b32 exec_lo, exec_lo, s33
	s_xor_b32 s0, s31, -1
	s_delay_alu instid0(SALU_CYCLE_1) | instskip(NEXT) | instid1(SALU_CYCLE_1)
	s_and_b32 s0, exec_lo, s0
	s_or_b32 s30, s0, s30
	s_delay_alu instid0(SALU_CYCLE_1)
	s_and_not1_b32 exec_lo, exec_lo, s30
	s_cbranch_execz .LBB31_13
.LBB31_17:                              ;   Parent Loop BB31_11 Depth=1
                                        ;     Parent Loop BB31_14 Depth=2
                                        ; =>    This Inner Loop Header: Depth=3
	s_delay_alu instid0(VALU_DEP_1)
	v_lshl_add_u32 v12, v11, 2, 0
	s_and_not1_b32 s31, s31, exec_lo
	s_mov_b32 s33, exec_lo
	ds_load_b32 v13, v12
	s_wait_dscnt 0x0
	v_cmpx_ne_u32_e64 v13, v1
	s_cbranch_execz .LBB31_16
; %bb.18:                               ;   in Loop: Header=BB31_17 Depth=3
	v_cmp_ne_u32_e64 s0, s28, v13
	s_and_saveexec_b32 s34, s0
	s_delay_alu instid0(SALU_CYCLE_1)
	s_xor_b32 s0, exec_lo, s34
; %bb.19:                               ;   in Loop: Header=BB31_17 Depth=3
	v_add_nc_u32_e32 v11, 1, v11
                                        ; implicit-def: $vgpr12
	s_delay_alu instid0(VALU_DEP_1)
	v_and_b32_e32 v11, 0x1ff, v11
; %bb.20:                               ;   in Loop: Header=BB31_17 Depth=3
	s_or_saveexec_b32 s34, s0
	s_mov_b32 s0, -1
	s_xor_b32 exec_lo, exec_lo, s34
	s_cbranch_execz .LBB31_15
; %bb.21:                               ;   in Loop: Header=BB31_17 Depth=3
	v_mov_b32_e32 v13, s28
	ds_cmpstore_rtn_b32 v12, v12, v1, v13
	s_wait_dscnt 0x0
	v_cmp_ne_u32_e64 s0, s28, v12
	s_or_not1_b32 s0, s0, exec_lo
	s_branch .LBB31_15
.LBB31_22:
	s_or_b32 exec_lo, exec_lo, s1
.LBB31_23:
	s_bfe_u32 s0, s29, 0x10008
	s_delay_alu instid0(SALU_CYCLE_1)
	s_cmp_eq_u32 s0, 0
	s_cbranch_scc1 .LBB31_26
; %bb.24:
	s_wait_kmcnt 0x0
	s_ashr_i32 s25, s24, 31
	v_mov_b32_e32 v1, 0
	s_lshl_b64 s[0:1], s[24:25], 3
	s_delay_alu instid0(SALU_CYCLE_1)
	s_add_nc_u64 s[0:1], s[4:5], s[0:1]
	s_mov_b32 s4, exec_lo
	s_load_b128 s[12:15], s[0:1], 0x0
	s_wait_xcnt 0x0
	s_mov_b32 s1, 0
	s_mov_b32 s0, s23
	s_delay_alu instid0(SALU_CYCLE_1) | instskip(SKIP_1) | instid1(VALU_DEP_1)
	v_sub_nc_u64_e64 v[2:3], v[0:1], s[0:1]
	s_wait_kmcnt 0x0
	v_add_nc_u64_e32 v[2:3], s[12:13], v[2:3]
	s_sub_nc_u64 s[2:3], s[14:15], s[0:1]
	s_delay_alu instid0(VALU_DEP_1) | instid1(SALU_CYCLE_1)
	v_cmpx_gt_i64_e64 s[2:3], v[2:3]
	s_cbranch_execnz .LBB31_40
.LBB31_25:
	s_or_b32 exec_lo, exec_lo, s4
.LBB31_26:
	s_barrier_signal -1
	s_barrier_wait -1
	s_and_saveexec_b32 s4, vcc_lo
	s_cbranch_execz .LBB31_48
; %bb.27:
	v_mbcnt_lo_u32_b32 v2, -1, 0
	v_dual_lshrrev_b32 v3, 4, v0 :: v_dual_mov_b32 v1, 0
	v_cmp_lt_u32_e64 s0, 63, v0
	v_cmp_lt_u32_e64 s1, 0x7f, v0
	s_delay_alu instid0(VALU_DEP_3)
	v_dual_mov_b32 v5, 0 :: v_dual_bitop2_b32 v3, 12, v3 bitop3:0x40
	v_xor_b32_e32 v2, 31, v2
	v_cmp_lt_u32_e64 s2, 0xbf, v0
	v_or_b32_e32 v4, 0xffffff00, v0
	s_mov_b32 s5, 0
	v_add_nc_u32_e32 v3, 0, v3
	v_lshrrev_b32_e64 v2, v2, -1
	v_cmp_eq_u32_e32 vcc_lo, 0xff, v0
	s_branch .LBB31_29
.LBB31_28:                              ;   in Loop: Header=BB31_29 Depth=1
	s_or_b32 exec_lo, exec_lo, s3
	s_wait_dscnt 0x0
	s_barrier_signal -1
	s_barrier_wait -1
	ds_load_b32 v6, v1 offset:2060
	v_add_co_u32 v4, s3, 0x100, v4
	s_xor_b32 s3, s3, -1
	v_add_nc_u32_e32 v10, 0x400, v10
	s_and_b32 s3, exec_lo, s3
	s_delay_alu instid0(SALU_CYCLE_1)
	s_or_b32 s5, s3, s5
	s_wait_dscnt 0x0
	v_add_nc_u32_e32 v5, v6, v5
	s_and_not1_b32 exec_lo, exec_lo, s5
	s_cbranch_execz .LBB31_48
.LBB31_29:                              ; =>This Inner Loop Header: Depth=1
	ds_load_b32 v6, v10
	s_wait_dscnt 0x0
	s_barrier_signal -1
	s_barrier_wait -1
	v_cmp_gt_i32_e64 s3, s28, v6
	s_bcnt1_i32_b32 s6, s3
	s_delay_alu instid0(SALU_CYCLE_1) | instskip(NEXT) | instid1(VALU_DEP_1)
	v_dual_mov_b32 v8, s6 :: v_dual_bitop2_b32 v7, s3, v2 bitop3:0x40
	v_bcnt_u32_b32 v7, v7, 0
	ds_store_b32 v3, v8 offset:2048
	s_wait_dscnt 0x0
	s_barrier_signal -1
	s_barrier_wait -1
	s_and_saveexec_b32 s6, s0
	s_cbranch_execnz .LBB31_34
; %bb.30:                               ;   in Loop: Header=BB31_29 Depth=1
	s_or_b32 exec_lo, exec_lo, s6
	s_and_saveexec_b32 s6, s1
	s_cbranch_execnz .LBB31_35
.LBB31_31:                              ;   in Loop: Header=BB31_29 Depth=1
	s_or_b32 exec_lo, exec_lo, s6
	s_and_saveexec_b32 s6, s2
	s_cbranch_execnz .LBB31_36
.LBB31_32:                              ;   in Loop: Header=BB31_29 Depth=1
	s_or_b32 exec_lo, exec_lo, s6
	s_and_saveexec_b32 s6, s3
	s_cbranch_execnz .LBB31_37
.LBB31_33:                              ;   in Loop: Header=BB31_29 Depth=1
	s_or_b32 exec_lo, exec_lo, s6
	s_and_saveexec_b32 s3, vcc_lo
	s_cbranch_execz .LBB31_28
	s_branch .LBB31_38
.LBB31_34:                              ;   in Loop: Header=BB31_29 Depth=1
	ds_load_b32 v8, v1 offset:2048
	s_wait_dscnt 0x0
	v_add_nc_u32_e32 v7, v8, v7
	s_or_b32 exec_lo, exec_lo, s6
	s_and_saveexec_b32 s6, s1
	s_cbranch_execz .LBB31_31
.LBB31_35:                              ;   in Loop: Header=BB31_29 Depth=1
	ds_load_b32 v8, v1 offset:2052
	s_wait_dscnt 0x0
	v_add_nc_u32_e32 v7, v8, v7
	s_or_b32 exec_lo, exec_lo, s6
	s_and_saveexec_b32 s6, s2
	s_cbranch_execz .LBB31_32
.LBB31_36:                              ;   in Loop: Header=BB31_29 Depth=1
	ds_load_b32 v8, v1 offset:2056
	s_wait_dscnt 0x0
	v_add_nc_u32_e32 v7, v8, v7
	s_or_b32 exec_lo, exec_lo, s6
	s_and_saveexec_b32 s6, s3
	s_cbranch_execz .LBB31_33
.LBB31_37:                              ;   in Loop: Header=BB31_29 Depth=1
	s_delay_alu instid0(VALU_DEP_1) | instskip(NEXT) | instid1(VALU_DEP_1)
	v_dual_lshlrev_b32 v8, 2, v5 :: v_dual_lshlrev_b32 v9, 2, v7
	v_add_nc_u32_e32 v8, 0, v8
	s_delay_alu instid0(VALU_DEP_1)
	v_add3_u32 v8, v8, v9, -4
	ds_store_b32 v8, v6
	s_or_b32 exec_lo, exec_lo, s6
	s_and_saveexec_b32 s3, vcc_lo
	s_cbranch_execz .LBB31_28
.LBB31_38:                              ;   in Loop: Header=BB31_29 Depth=1
	ds_store_b32 v1, v7 offset:2060
	s_branch .LBB31_28
.LBB31_39:                              ;   in Loop: Header=BB31_40 Depth=1
	s_or_b32 exec_lo, exec_lo, s5
	v_add_nc_u64_e32 v[2:3], 0x100, v[2:3]
	s_delay_alu instid0(VALU_DEP_1) | instskip(SKIP_1) | instid1(SALU_CYCLE_1)
	v_cmp_le_i64_e64 s0, s[2:3], v[2:3]
	s_or_b32 s1, s0, s1
	s_and_not1_b32 exec_lo, exec_lo, s1
	s_cbranch_execz .LBB31_25
.LBB31_40:                              ; =>This Loop Header: Depth=1
                                        ;     Child Loop BB31_43 Depth 2
	v_lshl_add_u64 v[4:5], v[2:3], 2, s[6:7]
	s_mov_b32 s5, 0
                                        ; implicit-def: $sgpr12
	global_load_b32 v1, v[4:5], off
	s_wait_loadcnt 0x0
	v_subrev_nc_u32_e32 v1, s23, v1
	s_delay_alu instid0(VALU_DEP_1) | instskip(NEXT) | instid1(VALU_DEP_1)
	v_mul_lo_u32 v4, 0x89, v1
	v_and_b32_e32 v4, 0x1ff, v4
	s_branch .LBB31_43
.LBB31_41:                              ;   in Loop: Header=BB31_43 Depth=2
	s_or_b32 exec_lo, exec_lo, s14
	s_delay_alu instid0(SALU_CYCLE_1) | instskip(SKIP_1) | instid1(SALU_CYCLE_1)
	s_and_not1_b32 s12, s12, exec_lo
	s_and_b32 s0, s0, exec_lo
	s_or_b32 s12, s12, s0
.LBB31_42:                              ;   in Loop: Header=BB31_43 Depth=2
	s_or_b32 exec_lo, exec_lo, s13
	s_xor_b32 s0, s12, -1
	s_delay_alu instid0(SALU_CYCLE_1) | instskip(NEXT) | instid1(SALU_CYCLE_1)
	s_and_b32 s0, exec_lo, s0
	s_or_b32 s5, s0, s5
	s_delay_alu instid0(SALU_CYCLE_1)
	s_and_not1_b32 exec_lo, exec_lo, s5
	s_cbranch_execz .LBB31_39
.LBB31_43:                              ;   Parent Loop BB31_40 Depth=1
                                        ; =>  This Inner Loop Header: Depth=2
	s_delay_alu instid0(VALU_DEP_1)
	v_lshl_add_u32 v5, v4, 2, 0
	s_and_not1_b32 s12, s12, exec_lo
	s_mov_b32 s13, exec_lo
	ds_load_b32 v6, v5
	s_wait_dscnt 0x0
	v_cmpx_ne_u32_e64 v6, v1
	s_cbranch_execz .LBB31_42
; %bb.44:                               ;   in Loop: Header=BB31_43 Depth=2
	v_cmp_ne_u32_e64 s0, s28, v6
	s_and_saveexec_b32 s14, s0
	s_delay_alu instid0(SALU_CYCLE_1)
	s_xor_b32 s0, exec_lo, s14
; %bb.45:                               ;   in Loop: Header=BB31_43 Depth=2
	v_add_nc_u32_e32 v4, 1, v4
                                        ; implicit-def: $vgpr5
	s_delay_alu instid0(VALU_DEP_1)
	v_and_b32_e32 v4, 0x1ff, v4
; %bb.46:                               ;   in Loop: Header=BB31_43 Depth=2
	s_or_saveexec_b32 s14, s0
	s_mov_b32 s0, -1
	s_xor_b32 exec_lo, exec_lo, s14
	s_cbranch_execz .LBB31_41
; %bb.47:                               ;   in Loop: Header=BB31_43 Depth=2
	v_mov_b32_e32 v6, s28
	ds_cmpstore_rtn_b32 v5, v5, v1, v6
	s_wait_dscnt 0x0
	v_cmp_ne_u32_e64 s0, s28, v5
	s_or_not1_b32 s0, s0, exec_lo
	s_branch .LBB31_41
.LBB31_48:
	s_or_b32 exec_lo, exec_lo, s4
	s_wait_kmcnt 0x0
	s_ashr_i32 s25, s24, 31
	s_delay_alu instid0(SALU_CYCLE_1) | instskip(NEXT) | instid1(SALU_CYCLE_1)
	s_lshl_b64 s[0:1], s[24:25], 3
	s_add_nc_u64 s[4:5], s[8:9], s[0:1]
	s_load_b128 s[0:3], s[4:5], 0x0
	s_wait_xcnt 0x0
	s_mov_b32 s4, exec_lo
	s_wait_kmcnt 0x0
	s_sub_co_i32 s3, s2, s0
	s_delay_alu instid0(SALU_CYCLE_1)
	v_cmpx_gt_i32_e64 s3, v0
	s_cbranch_execz .LBB31_58
; %bb.49:
	s_sub_co_i32 s4, s0, s2
	s_and_b32 s2, s3, 7
	s_cmp_lt_u32 s4, -7
	s_mov_b32 s23, 0
	s_cselect_b32 s4, -1, 0
	s_and_b32 s5, s3, -8
	s_cmp_lg_u32 s2, 0
	s_sub_nc_u64 s[0:1], s[0:1], s[22:23]
	s_cselect_b32 s6, -1, 0
	s_mov_b32 s7, 0
	s_branch .LBB31_51
.LBB31_50:                              ;   in Loop: Header=BB31_51 Depth=1
	v_add_nc_u32_e32 v0, 0x100, v0
	s_wait_dscnt 0x0
	v_add_nc_u32_e32 v1, s22, v1
	s_delay_alu instid0(VALU_DEP_3) | instskip(NEXT) | instid1(VALU_DEP_3)
	v_lshl_add_u64 v[2:3], v[2:3], 2, s[10:11]
	v_cmp_le_i32_e32 vcc_lo, s3, v0
	global_store_b32 v[2:3], v1, off
	s_or_b32 s7, vcc_lo, s7
	s_wait_xcnt 0x0
	s_and_not1_b32 exec_lo, exec_lo, s7
	s_cbranch_execz .LBB31_58
.LBB31_51:                              ; =>This Loop Header: Depth=1
                                        ;     Child Loop BB31_53 Depth 2
                                        ;     Child Loop BB31_57 Depth 2
	v_lshl_add_u32 v1, v0, 2, 0
	v_mov_b64_e32 v[2:3], s[0:1]
	s_and_not1_b32 vcc_lo, exec_lo, s4
	s_mov_b32 s8, 0
	ds_load_b32 v1, v1
	s_cbranch_vccnz .LBB31_55
; %bb.52:                               ;   in Loop: Header=BB31_51 Depth=1
	v_mov_b64_e32 v[2:3], s[0:1]
	s_mov_b32 s9, 0
.LBB31_53:                              ;   Parent Loop BB31_51 Depth=1
                                        ; =>  This Inner Loop Header: Depth=2
	s_delay_alu instid0(SALU_CYCLE_1)
	v_dual_mov_b32 v8, s9 :: v_dual_mov_b32 v9, s23
	v_mov_b32_e32 v15, s23
	s_add_co_i32 s8, s8, 8
	s_add_co_i32 s9, s9, 32
	ds_load_2addr_b32 v[4:5], v8 offset1:1
	ds_load_2addr_b32 v[6:7], v8 offset0:2 offset1:3
	ds_load_2addr_b32 v[10:11], v8 offset0:4 offset1:5
	;; [unrolled: 1-line block ×3, first 2 shown]
	s_cmp_eq_u32 s5, s8
	s_wait_dscnt 0x3
	v_cmp_gt_i32_e32 vcc_lo, v1, v4
	v_cndmask_b32_e64 v8, 0, 1, vcc_lo
	v_cmp_gt_i32_e32 vcc_lo, v1, v5
	v_mov_b32_e32 v5, s23
	s_delay_alu instid0(VALU_DEP_3) | instskip(SKIP_4) | instid1(VALU_DEP_3)
	v_add_nc_u64_e32 v[2:3], v[2:3], v[8:9]
	v_cndmask_b32_e64 v14, 0, 1, vcc_lo
	s_wait_dscnt 0x2
	v_cmp_gt_i32_e32 vcc_lo, v1, v6
	v_cndmask_b32_e64 v4, 0, 1, vcc_lo
	v_add_nc_u64_e32 v[2:3], v[2:3], v[14:15]
	v_cmp_gt_i32_e32 vcc_lo, v1, v7
	v_mov_b32_e32 v7, s23
	v_cndmask_b32_e64 v8, 0, 1, vcc_lo
	s_delay_alu instid0(VALU_DEP_4) | instskip(SKIP_3) | instid1(VALU_DEP_3)
	v_add_nc_u64_e32 v[2:3], v[2:3], v[4:5]
	s_wait_dscnt 0x1
	v_cmp_gt_i32_e32 vcc_lo, v1, v10
	v_cndmask_b32_e64 v4, 0, 1, vcc_lo
	v_add_nc_u64_e32 v[2:3], v[2:3], v[8:9]
	v_cmp_gt_i32_e32 vcc_lo, v1, v11
	v_cndmask_b32_e64 v6, 0, 1, vcc_lo
	s_delay_alu instid0(VALU_DEP_3) | instskip(SKIP_3) | instid1(VALU_DEP_3)
	v_add_nc_u64_e32 v[2:3], v[2:3], v[4:5]
	s_wait_dscnt 0x0
	v_cmp_gt_i32_e32 vcc_lo, v1, v12
	v_cndmask_b32_e64 v4, 0, 1, vcc_lo
	v_add_nc_u64_e32 v[2:3], v[2:3], v[6:7]
	v_cmp_gt_i32_e32 vcc_lo, v1, v13
	v_cndmask_b32_e64 v6, 0, 1, vcc_lo
	s_delay_alu instid0(VALU_DEP_3) | instskip(NEXT) | instid1(VALU_DEP_1)
	v_add_nc_u64_e32 v[2:3], v[2:3], v[4:5]
	v_add_nc_u64_e32 v[2:3], v[2:3], v[6:7]
	s_cbranch_scc0 .LBB31_53
; %bb.54:                               ;   in Loop: Header=BB31_51 Depth=1
	s_mov_b32 s8, s5
.LBB31_55:                              ;   in Loop: Header=BB31_51 Depth=1
	s_and_not1_b32 vcc_lo, exec_lo, s6
	s_cbranch_vccnz .LBB31_50
; %bb.56:                               ;   in Loop: Header=BB31_51 Depth=1
	s_lshl_b32 s8, s8, 2
	s_mov_b32 s9, s2
	s_add_co_i32 s8, s8, 0
.LBB31_57:                              ;   Parent Loop BB31_51 Depth=1
                                        ; =>  This Inner Loop Header: Depth=2
	s_delay_alu instid0(SALU_CYCLE_1)
	v_dual_mov_b32 v4, s8 :: v_dual_mov_b32 v5, s23
	s_add_co_i32 s9, s9, -1
	s_add_co_i32 s8, s8, 4
	s_cmp_lg_u32 s9, 0
	ds_load_b32 v4, v4
	s_wait_dscnt 0x0
	v_cmp_gt_i32_e32 vcc_lo, v1, v4
	v_cndmask_b32_e64 v4, 0, 1, vcc_lo
	s_delay_alu instid0(VALU_DEP_1)
	v_add_nc_u64_e32 v[2:3], v[2:3], v[4:5]
	s_cbranch_scc1 .LBB31_57
	s_branch .LBB31_50
.LBB31_58:
	s_endpgm
	.section	.rodata,"a",@progbits
	.p2align	6, 0x0
	.amdhsa_kernel _ZN9rocsparseL35csrgemm_symbolic_fill_block_per_rowILj256ELj32ELj512ELj137ELj64EliEEvT5_PKS1_S3_PKT4_S3_S6_S3_S6_S3_S6_PS1_21rocsparse_index_base_S8_S8_S8_bb
		.amdhsa_group_segment_fixed_size 0
		.amdhsa_private_segment_fixed_size 0
		.amdhsa_kernarg_size 108
		.amdhsa_user_sgpr_count 2
		.amdhsa_user_sgpr_dispatch_ptr 0
		.amdhsa_user_sgpr_queue_ptr 0
		.amdhsa_user_sgpr_kernarg_segment_ptr 1
		.amdhsa_user_sgpr_dispatch_id 0
		.amdhsa_user_sgpr_kernarg_preload_length 0
		.amdhsa_user_sgpr_kernarg_preload_offset 0
		.amdhsa_user_sgpr_private_segment_size 0
		.amdhsa_wavefront_size32 1
		.amdhsa_uses_dynamic_stack 0
		.amdhsa_enable_private_segment 0
		.amdhsa_system_sgpr_workgroup_id_x 1
		.amdhsa_system_sgpr_workgroup_id_y 0
		.amdhsa_system_sgpr_workgroup_id_z 0
		.amdhsa_system_sgpr_workgroup_info 0
		.amdhsa_system_vgpr_workitem_id 0
		.amdhsa_next_free_vgpr 16
		.amdhsa_next_free_sgpr 40
		.amdhsa_named_barrier_count 0
		.amdhsa_reserve_vcc 1
		.amdhsa_float_round_mode_32 0
		.amdhsa_float_round_mode_16_64 0
		.amdhsa_float_denorm_mode_32 3
		.amdhsa_float_denorm_mode_16_64 3
		.amdhsa_fp16_overflow 0
		.amdhsa_memory_ordered 1
		.amdhsa_forward_progress 1
		.amdhsa_inst_pref_size 18
		.amdhsa_round_robin_scheduling 0
		.amdhsa_exception_fp_ieee_invalid_op 0
		.amdhsa_exception_fp_denorm_src 0
		.amdhsa_exception_fp_ieee_div_zero 0
		.amdhsa_exception_fp_ieee_overflow 0
		.amdhsa_exception_fp_ieee_underflow 0
		.amdhsa_exception_fp_ieee_inexact 0
		.amdhsa_exception_int_div_zero 0
	.end_amdhsa_kernel
	.section	.text._ZN9rocsparseL35csrgemm_symbolic_fill_block_per_rowILj256ELj32ELj512ELj137ELj64EliEEvT5_PKS1_S3_PKT4_S3_S6_S3_S6_S3_S6_PS1_21rocsparse_index_base_S8_S8_S8_bb,"axG",@progbits,_ZN9rocsparseL35csrgemm_symbolic_fill_block_per_rowILj256ELj32ELj512ELj137ELj64EliEEvT5_PKS1_S3_PKT4_S3_S6_S3_S6_S3_S6_PS1_21rocsparse_index_base_S8_S8_S8_bb,comdat
.Lfunc_end31:
	.size	_ZN9rocsparseL35csrgemm_symbolic_fill_block_per_rowILj256ELj32ELj512ELj137ELj64EliEEvT5_PKS1_S3_PKT4_S3_S6_S3_S6_S3_S6_PS1_21rocsparse_index_base_S8_S8_S8_bb, .Lfunc_end31-_ZN9rocsparseL35csrgemm_symbolic_fill_block_per_rowILj256ELj32ELj512ELj137ELj64EliEEvT5_PKS1_S3_PKT4_S3_S6_S3_S6_S3_S6_PS1_21rocsparse_index_base_S8_S8_S8_bb
                                        ; -- End function
	.set _ZN9rocsparseL35csrgemm_symbolic_fill_block_per_rowILj256ELj32ELj512ELj137ELj64EliEEvT5_PKS1_S3_PKT4_S3_S6_S3_S6_S3_S6_PS1_21rocsparse_index_base_S8_S8_S8_bb.num_vgpr, 16
	.set _ZN9rocsparseL35csrgemm_symbolic_fill_block_per_rowILj256ELj32ELj512ELj137ELj64EliEEvT5_PKS1_S3_PKT4_S3_S6_S3_S6_S3_S6_PS1_21rocsparse_index_base_S8_S8_S8_bb.num_agpr, 0
	.set _ZN9rocsparseL35csrgemm_symbolic_fill_block_per_rowILj256ELj32ELj512ELj137ELj64EliEEvT5_PKS1_S3_PKT4_S3_S6_S3_S6_S3_S6_PS1_21rocsparse_index_base_S8_S8_S8_bb.numbered_sgpr, 40
	.set _ZN9rocsparseL35csrgemm_symbolic_fill_block_per_rowILj256ELj32ELj512ELj137ELj64EliEEvT5_PKS1_S3_PKT4_S3_S6_S3_S6_S3_S6_PS1_21rocsparse_index_base_S8_S8_S8_bb.num_named_barrier, 0
	.set _ZN9rocsparseL35csrgemm_symbolic_fill_block_per_rowILj256ELj32ELj512ELj137ELj64EliEEvT5_PKS1_S3_PKT4_S3_S6_S3_S6_S3_S6_PS1_21rocsparse_index_base_S8_S8_S8_bb.private_seg_size, 0
	.set _ZN9rocsparseL35csrgemm_symbolic_fill_block_per_rowILj256ELj32ELj512ELj137ELj64EliEEvT5_PKS1_S3_PKT4_S3_S6_S3_S6_S3_S6_PS1_21rocsparse_index_base_S8_S8_S8_bb.uses_vcc, 1
	.set _ZN9rocsparseL35csrgemm_symbolic_fill_block_per_rowILj256ELj32ELj512ELj137ELj64EliEEvT5_PKS1_S3_PKT4_S3_S6_S3_S6_S3_S6_PS1_21rocsparse_index_base_S8_S8_S8_bb.uses_flat_scratch, 0
	.set _ZN9rocsparseL35csrgemm_symbolic_fill_block_per_rowILj256ELj32ELj512ELj137ELj64EliEEvT5_PKS1_S3_PKT4_S3_S6_S3_S6_S3_S6_PS1_21rocsparse_index_base_S8_S8_S8_bb.has_dyn_sized_stack, 0
	.set _ZN9rocsparseL35csrgemm_symbolic_fill_block_per_rowILj256ELj32ELj512ELj137ELj64EliEEvT5_PKS1_S3_PKT4_S3_S6_S3_S6_S3_S6_PS1_21rocsparse_index_base_S8_S8_S8_bb.has_recursion, 0
	.set _ZN9rocsparseL35csrgemm_symbolic_fill_block_per_rowILj256ELj32ELj512ELj137ELj64EliEEvT5_PKS1_S3_PKT4_S3_S6_S3_S6_S3_S6_PS1_21rocsparse_index_base_S8_S8_S8_bb.has_indirect_call, 0
	.section	.AMDGPU.csdata,"",@progbits
; Kernel info:
; codeLenInByte = 2248
; TotalNumSgprs: 42
; NumVgprs: 16
; ScratchSize: 0
; MemoryBound: 0
; FloatMode: 240
; IeeeMode: 1
; LDSByteSize: 0 bytes/workgroup (compile time only)
; SGPRBlocks: 0
; VGPRBlocks: 0
; NumSGPRsForWavesPerEU: 42
; NumVGPRsForWavesPerEU: 16
; NamedBarCnt: 0
; Occupancy: 16
; WaveLimiterHint : 1
; COMPUTE_PGM_RSRC2:SCRATCH_EN: 0
; COMPUTE_PGM_RSRC2:USER_SGPR: 2
; COMPUTE_PGM_RSRC2:TRAP_HANDLER: 0
; COMPUTE_PGM_RSRC2:TGID_X_EN: 1
; COMPUTE_PGM_RSRC2:TGID_Y_EN: 0
; COMPUTE_PGM_RSRC2:TGID_Z_EN: 0
; COMPUTE_PGM_RSRC2:TIDIG_COMP_CNT: 0
	.section	.text._ZN9rocsparseL35csrgemm_symbolic_fill_block_per_rowILj512ELj32ELj1024ELj137ELj32EliEEvT5_PKS1_S3_PKT4_S3_S6_S3_S6_S3_S6_PS1_21rocsparse_index_base_S8_S8_S8_bb,"axG",@progbits,_ZN9rocsparseL35csrgemm_symbolic_fill_block_per_rowILj512ELj32ELj1024ELj137ELj32EliEEvT5_PKS1_S3_PKT4_S3_S6_S3_S6_S3_S6_PS1_21rocsparse_index_base_S8_S8_S8_bb,comdat
	.globl	_ZN9rocsparseL35csrgemm_symbolic_fill_block_per_rowILj512ELj32ELj1024ELj137ELj32EliEEvT5_PKS1_S3_PKT4_S3_S6_S3_S6_S3_S6_PS1_21rocsparse_index_base_S8_S8_S8_bb ; -- Begin function _ZN9rocsparseL35csrgemm_symbolic_fill_block_per_rowILj512ELj32ELj1024ELj137ELj32EliEEvT5_PKS1_S3_PKT4_S3_S6_S3_S6_S3_S6_PS1_21rocsparse_index_base_S8_S8_S8_bb
	.p2align	8
	.type	_ZN9rocsparseL35csrgemm_symbolic_fill_block_per_rowILj512ELj32ELj1024ELj137ELj32EliEEvT5_PKS1_S3_PKT4_S3_S6_S3_S6_S3_S6_PS1_21rocsparse_index_base_S8_S8_S8_bb,@function
_ZN9rocsparseL35csrgemm_symbolic_fill_block_per_rowILj512ELj32ELj1024ELj137ELj32EliEEvT5_PKS1_S3_PKT4_S3_S6_S3_S6_S3_S6_PS1_21rocsparse_index_base_S8_S8_S8_bb: ; @_ZN9rocsparseL35csrgemm_symbolic_fill_block_per_rowILj512ELj32ELj1024ELj137ELj32EliEEvT5_PKS1_S3_PKT4_S3_S6_S3_S6_S3_S6_PS1_21rocsparse_index_base_S8_S8_S8_bb
; %bb.0:
	s_clause 0x3
	s_load_b128 s[20:23], s[0:1], 0x48
	s_load_b256 s[4:11], s[0:1], 0x28
	s_load_b32 s30, s[0:1], 0x0
	s_load_b256 s[12:19], s[0:1], 0x8
	v_lshl_add_u32 v12, v0, 2, 0
	s_mov_b32 s24, 0
	s_mov_b32 s2, 0
	s_delay_alu instid0(VALU_DEP_1)
	v_mov_b32_e32 v1, v12
	s_branch .LBB32_2
.LBB32_1:                               ;   in Loop: Header=BB32_2 Depth=1
	s_or_b32 exec_lo, exec_lo, s25
	s_add_co_i32 s2, s2, 2
	v_add_nc_u32_e32 v1, 0x1000, v1
	v_cmp_eq_u32_e64 s3, 2, s2
	s_or_b32 s24, s3, s24
	s_delay_alu instid0(SALU_CYCLE_1)
	s_and_not1_b32 exec_lo, exec_lo, s24
	s_cbranch_execz .LBB32_6
.LBB32_2:                               ; =>This Inner Loop Header: Depth=1
	s_mov_b32 s3, s2
	s_mov_b32 s25, exec_lo
	s_or_b64 s[26:27], s[2:3], 0x100000000
	s_delay_alu instid0(SALU_CYCLE_1)
	v_cmp_le_u32_e64 s3, s27, 1
	v_cmpx_le_u32_e64 s26, 1
	s_cbranch_execz .LBB32_4
; %bb.3:                                ;   in Loop: Header=BB32_2 Depth=1
	s_wait_kmcnt 0x0
	v_mov_b32_e32 v2, s30
	ds_store_b32 v1, v2
.LBB32_4:                               ;   in Loop: Header=BB32_2 Depth=1
	s_or_b32 exec_lo, exec_lo, s25
	s_and_saveexec_b32 s25, s3
	s_cbranch_execz .LBB32_1
; %bb.5:                                ;   in Loop: Header=BB32_2 Depth=1
	s_wait_kmcnt 0x0
	v_mov_b32_e32 v2, s30
	ds_store_b32 v1, v2 offset:2048
	s_branch .LBB32_1
.LBB32_6:
	s_or_b32 exec_lo, exec_lo, s24
	s_wait_dscnt 0x0
	s_barrier_signal -1
	s_barrier_wait -1
	s_wait_kmcnt 0x0
	s_load_b32 s2, s[12:13], 0x0
	s_bfe_u32 s3, ttmp6, 0x4000c
	s_wait_xcnt 0x0
	s_and_b32 s12, ttmp6, 15
	s_add_co_i32 s3, s3, 1
	s_getreg_b32 s13, hwreg(HW_REG_IB_STS2, 6, 4)
	s_mul_i32 s3, ttmp9, s3
	v_lshrrev_b32_e32 v2, 5, v0
	s_add_co_i32 s12, s12, s3
	s_cmp_eq_u32 s13, 0
	s_cselect_b32 s3, ttmp9, s12
	s_load_b32 s12, s[0:1], 0x68
	s_wait_kmcnt 0x0
	s_add_co_i32 s2, s2, s3
	s_load_b128 s[24:27], s[0:1], 0x58
	s_load_b32 s28, s[14:15], s2 offset:0x0 scale_offset
	s_wait_xcnt 0x0
	s_mov_b32 s1, 0
	s_bitcmp0_b32 s12, 0
	s_cbranch_scc1 .LBB32_22
; %bb.7:
	s_wait_kmcnt 0x0
	s_ashr_i32 s29, s28, 31
	v_mov_b32_e32 v3, 0
	s_lshl_b64 s[2:3], s[28:29], 3
	s_mov_b32 s0, s24
	s_add_nc_u64 s[2:3], s[16:17], s[2:3]
	s_mov_b32 s13, exec_lo
	s_load_b128 s[36:39], s[2:3], 0x0
	v_sub_nc_u64_e64 v[4:5], v[2:3], s[0:1]
	s_wait_kmcnt 0x0
	s_delay_alu instid0(VALU_DEP_1)
	v_add_nc_u64_e32 v[4:5], s[36:37], v[4:5]
	s_sub_nc_u64 s[0:1], s[38:39], s[0:1]
	s_delay_alu instid0(VALU_DEP_1) | instid1(SALU_CYCLE_1)
	v_cmpx_gt_i64_e64 s[0:1], v[4:5]
	s_cbranch_execz .LBB32_21
; %bb.8:
	v_dual_mov_b32 v7, v3 :: v_dual_bitop2_b32 v6, 31, v0 bitop3:0x40
	s_mov_b32 s3, 0
	s_mov_b32 s2, s25
	;; [unrolled: 1-line block ×3, first 2 shown]
	s_delay_alu instid0(VALU_DEP_1)
	v_sub_nc_u64_e64 v[6:7], v[6:7], s[2:3]
	s_branch .LBB32_10
.LBB32_9:                               ;   in Loop: Header=BB32_10 Depth=1
	s_or_b32 exec_lo, exec_lo, s15
	v_add_nc_u64_e32 v[4:5], 16, v[4:5]
	s_delay_alu instid0(VALU_DEP_1) | instskip(SKIP_1) | instid1(SALU_CYCLE_1)
	v_cmp_le_i64_e32 vcc_lo, s[0:1], v[4:5]
	s_or_b32 s14, vcc_lo, s14
	s_and_not1_b32 exec_lo, exec_lo, s14
	s_cbranch_execz .LBB32_21
.LBB32_10:                              ; =>This Loop Header: Depth=1
                                        ;     Child Loop BB32_13 Depth 2
                                        ;       Child Loop BB32_16 Depth 3
	v_lshl_add_u64 v[8:9], v[4:5], 2, s[18:19]
	s_mov_b32 s15, exec_lo
	global_load_b32 v1, v[8:9], off
	s_wait_loadcnt 0x0
	v_subrev_nc_u32_e32 v8, s24, v1
	s_delay_alu instid0(VALU_DEP_1) | instskip(NEXT) | instid1(VALU_DEP_1)
	v_ashrrev_i32_e32 v9, 31, v8
	v_lshl_add_u64 v[8:9], v[8:9], 3, s[4:5]
	global_load_b128 v[14:17], v[8:9], off
	s_wait_loadcnt 0x0
	v_sub_nc_u64_e64 v[8:9], v[16:17], s[2:3]
	v_add_nc_u64_e32 v[10:11], v[14:15], v[6:7]
	s_delay_alu instid0(VALU_DEP_1)
	v_cmpx_lt_i64_e64 v[10:11], v[8:9]
	s_cbranch_execz .LBB32_9
; %bb.11:                               ;   in Loop: Header=BB32_10 Depth=1
	s_mov_b32 s16, 0
	s_branch .LBB32_13
.LBB32_12:                              ;   in Loop: Header=BB32_13 Depth=2
	s_or_b32 exec_lo, exec_lo, s17
	v_add_nc_u64_e32 v[10:11], 32, v[10:11]
	s_delay_alu instid0(VALU_DEP_1) | instskip(SKIP_1) | instid1(SALU_CYCLE_1)
	v_cmp_ge_i64_e32 vcc_lo, v[10:11], v[8:9]
	s_or_b32 s16, vcc_lo, s16
	s_and_not1_b32 exec_lo, exec_lo, s16
	s_cbranch_execz .LBB32_9
.LBB32_13:                              ;   Parent Loop BB32_10 Depth=1
                                        ; =>  This Loop Header: Depth=2
                                        ;       Child Loop BB32_16 Depth 3
	v_lshl_add_u64 v[14:15], v[10:11], 2, s[6:7]
	s_mov_b32 s17, 0
                                        ; implicit-def: $sgpr29
	global_load_b32 v1, v[14:15], off
	s_wait_loadcnt 0x0
	v_subrev_nc_u32_e32 v1, s25, v1
	s_delay_alu instid0(VALU_DEP_1) | instskip(NEXT) | instid1(VALU_DEP_1)
	v_mul_lo_u32 v3, 0x89, v1
	v_and_b32_e32 v3, 0x3ff, v3
	s_branch .LBB32_16
.LBB32_14:                              ;   in Loop: Header=BB32_16 Depth=3
	s_or_b32 exec_lo, exec_lo, s33
	s_delay_alu instid0(SALU_CYCLE_1) | instskip(SKIP_1) | instid1(SALU_CYCLE_1)
	s_and_not1_b32 s29, s29, exec_lo
	s_and_b32 s33, s34, exec_lo
	s_or_b32 s29, s29, s33
.LBB32_15:                              ;   in Loop: Header=BB32_16 Depth=3
	s_or_b32 exec_lo, exec_lo, s31
	s_xor_b32 s31, s29, -1
	s_delay_alu instid0(SALU_CYCLE_1) | instskip(NEXT) | instid1(SALU_CYCLE_1)
	s_and_b32 s31, exec_lo, s31
	s_or_b32 s17, s31, s17
	s_delay_alu instid0(SALU_CYCLE_1)
	s_and_not1_b32 exec_lo, exec_lo, s17
	s_cbranch_execz .LBB32_12
.LBB32_16:                              ;   Parent Loop BB32_10 Depth=1
                                        ;     Parent Loop BB32_13 Depth=2
                                        ; =>    This Inner Loop Header: Depth=3
	s_delay_alu instid0(VALU_DEP_1)
	v_lshl_add_u32 v13, v3, 2, 0
	s_and_not1_b32 s29, s29, exec_lo
	s_mov_b32 s31, exec_lo
	ds_load_b32 v14, v13
	s_wait_dscnt 0x0
	v_cmpx_ne_u32_e64 v14, v1
	s_cbranch_execz .LBB32_15
; %bb.17:                               ;   in Loop: Header=BB32_16 Depth=3
	s_mov_b32 s33, exec_lo
	v_cmpx_ne_u32_e64 s30, v14
	s_xor_b32 s33, exec_lo, s33
; %bb.18:                               ;   in Loop: Header=BB32_16 Depth=3
	v_add_nc_u32_e32 v3, 1, v3
                                        ; implicit-def: $vgpr13
	s_delay_alu instid0(VALU_DEP_1)
	v_and_b32_e32 v3, 0x3ff, v3
; %bb.19:                               ;   in Loop: Header=BB32_16 Depth=3
	s_or_saveexec_b32 s33, s33
	s_mov_b32 s34, -1
	s_xor_b32 exec_lo, exec_lo, s33
	s_cbranch_execz .LBB32_14
; %bb.20:                               ;   in Loop: Header=BB32_16 Depth=3
	v_mov_b32_e32 v14, s30
	ds_cmpstore_rtn_b32 v13, v13, v1, v14
	s_wait_dscnt 0x0
	v_cmp_ne_u32_e32 vcc_lo, s30, v13
	s_or_not1_b32 s34, vcc_lo, exec_lo
	s_branch .LBB32_14
.LBB32_21:
	s_or_b32 exec_lo, exec_lo, s13
.LBB32_22:
	s_bfe_u32 s0, s12, 0x10008
	s_delay_alu instid0(SALU_CYCLE_1)
	s_cmp_eq_u32 s0, 0
	s_cbranch_scc1 .LBB32_25
; %bb.23:
	s_wait_kmcnt 0x0
	s_ashr_i32 s29, s28, 31
	v_mov_b32_e32 v1, 0
	s_lshl_b64 s[0:1], s[28:29], 3
	s_delay_alu instid0(SALU_CYCLE_1) | instskip(SKIP_4) | instid1(SALU_CYCLE_1)
	s_add_nc_u64 s[0:1], s[8:9], s[0:1]
	s_load_b128 s[4:7], s[0:1], 0x0
	s_wait_xcnt 0x0
	s_mov_b32 s1, 0
	s_mov_b32 s0, s27
	v_sub_nc_u64_e64 v[4:5], v[0:1], s[0:1]
	s_wait_kmcnt 0x0
	s_delay_alu instid0(VALU_DEP_1) | instskip(SKIP_2) | instid1(VALU_DEP_1)
	v_add_nc_u64_e32 v[4:5], s[4:5], v[4:5]
	s_sub_nc_u64 s[2:3], s[6:7], s[0:1]
	s_mov_b32 s0, exec_lo
	v_cmpx_gt_i64_e64 s[2:3], v[4:5]
	s_cbranch_execnz .LBB32_62
.LBB32_24:
	s_or_b32 exec_lo, exec_lo, s0
.LBB32_25:
	v_mbcnt_lo_u32_b32 v4, -1, 0
	v_mov_b32_e32 v1, 0
	v_lshl_add_u32 v3, v2, 2, 0
	v_cmp_lt_u32_e64 s0, 31, v0
	v_cmp_lt_u32_e64 s1, 63, v0
	v_xor_b32_e32 v2, 31, v4
	v_cmp_lt_u32_e64 s2, 0x5f, v0
	v_cmp_lt_u32_e64 s3, 0x7f, v0
	;; [unrolled: 1-line block ×4, first 2 shown]
	v_lshrrev_b32_e64 v2, v2, -1
	v_cmp_lt_u32_e64 s6, 0xdf, v0
	v_cmp_lt_u32_e64 s7, 0xff, v0
	;; [unrolled: 1-line block ×9, first 2 shown]
	v_or_b32_e32 v4, 0xfffffe00, v0
	v_mov_b32_e32 v5, 0
	s_mov_b32 s16, 0
	v_cmp_eq_u32_e32 vcc_lo, 0x1ff, v0
	s_barrier_signal -1
	s_barrier_wait -1
	s_branch .LBB32_27
.LBB32_26:                              ;   in Loop: Header=BB32_27 Depth=1
	s_or_b32 exec_lo, exec_lo, s15
	s_wait_dscnt 0x0
	s_barrier_signal -1
	s_barrier_wait -1
	ds_load_b32 v6, v1 offset:4156
	v_add_co_u32 v4, s15, 0x200, v4
	s_xor_b32 s15, s15, -1
	v_add_nc_u32_e32 v12, 0x800, v12
	s_and_b32 s15, exec_lo, s15
	s_delay_alu instid0(SALU_CYCLE_1)
	s_or_b32 s16, s15, s16
	s_wait_dscnt 0x0
	v_add_nc_u32_e32 v5, v6, v5
	s_and_not1_b32 exec_lo, exec_lo, s16
	s_cbranch_execz .LBB32_70
.LBB32_27:                              ; =>This Inner Loop Header: Depth=1
	ds_load_b32 v6, v12
	s_wait_dscnt 0x0
	s_barrier_signal -1
	s_barrier_wait -1
	v_cmp_gt_i32_e64 s15, s30, v6
	s_bcnt1_i32_b32 s17, s15
	s_delay_alu instid0(SALU_CYCLE_1) | instskip(NEXT) | instid1(VALU_DEP_1)
	v_dual_mov_b32 v8, s17 :: v_dual_bitop2_b32 v7, s15, v2 bitop3:0x40
	v_bcnt_u32_b32 v7, v7, 0
	ds_store_b32 v3, v8 offset:4096
	s_wait_dscnt 0x0
	s_barrier_signal -1
	s_barrier_wait -1
	s_and_saveexec_b32 s17, s0
	s_cbranch_execnz .LBB32_44
; %bb.28:                               ;   in Loop: Header=BB32_27 Depth=1
	s_or_b32 exec_lo, exec_lo, s17
	s_and_saveexec_b32 s17, s1
	s_cbranch_execnz .LBB32_45
.LBB32_29:                              ;   in Loop: Header=BB32_27 Depth=1
	s_or_b32 exec_lo, exec_lo, s17
	s_and_saveexec_b32 s17, s2
	s_cbranch_execnz .LBB32_46
.LBB32_30:                              ;   in Loop: Header=BB32_27 Depth=1
	s_or_b32 exec_lo, exec_lo, s17
	s_and_saveexec_b32 s17, s3
	s_cbranch_execnz .LBB32_47
.LBB32_31:                              ;   in Loop: Header=BB32_27 Depth=1
	s_or_b32 exec_lo, exec_lo, s17
	s_and_saveexec_b32 s17, s4
	s_cbranch_execnz .LBB32_48
.LBB32_32:                              ;   in Loop: Header=BB32_27 Depth=1
	s_or_b32 exec_lo, exec_lo, s17
	s_and_saveexec_b32 s17, s5
	s_cbranch_execnz .LBB32_49
.LBB32_33:                              ;   in Loop: Header=BB32_27 Depth=1
	s_or_b32 exec_lo, exec_lo, s17
	s_and_saveexec_b32 s17, s6
	s_cbranch_execnz .LBB32_50
.LBB32_34:                              ;   in Loop: Header=BB32_27 Depth=1
	s_or_b32 exec_lo, exec_lo, s17
	s_and_saveexec_b32 s17, s7
	s_cbranch_execnz .LBB32_51
.LBB32_35:                              ;   in Loop: Header=BB32_27 Depth=1
	s_or_b32 exec_lo, exec_lo, s17
	s_and_saveexec_b32 s17, s8
	s_cbranch_execnz .LBB32_52
.LBB32_36:                              ;   in Loop: Header=BB32_27 Depth=1
	s_or_b32 exec_lo, exec_lo, s17
	s_and_saveexec_b32 s17, s9
	s_cbranch_execnz .LBB32_53
.LBB32_37:                              ;   in Loop: Header=BB32_27 Depth=1
	s_or_b32 exec_lo, exec_lo, s17
	s_and_saveexec_b32 s17, s10
	s_cbranch_execnz .LBB32_54
.LBB32_38:                              ;   in Loop: Header=BB32_27 Depth=1
	s_or_b32 exec_lo, exec_lo, s17
	s_and_saveexec_b32 s17, s11
	s_cbranch_execnz .LBB32_55
.LBB32_39:                              ;   in Loop: Header=BB32_27 Depth=1
	s_or_b32 exec_lo, exec_lo, s17
	s_and_saveexec_b32 s17, s12
	s_cbranch_execnz .LBB32_56
.LBB32_40:                              ;   in Loop: Header=BB32_27 Depth=1
	s_or_b32 exec_lo, exec_lo, s17
	s_and_saveexec_b32 s17, s13
	s_cbranch_execnz .LBB32_57
.LBB32_41:                              ;   in Loop: Header=BB32_27 Depth=1
	s_or_b32 exec_lo, exec_lo, s17
	s_and_saveexec_b32 s17, s14
	s_cbranch_execnz .LBB32_58
.LBB32_42:                              ;   in Loop: Header=BB32_27 Depth=1
	s_or_b32 exec_lo, exec_lo, s17
	s_and_saveexec_b32 s17, s15
	s_cbranch_execnz .LBB32_59
.LBB32_43:                              ;   in Loop: Header=BB32_27 Depth=1
	s_or_b32 exec_lo, exec_lo, s17
	s_and_saveexec_b32 s15, vcc_lo
	s_cbranch_execz .LBB32_26
	s_branch .LBB32_60
.LBB32_44:                              ;   in Loop: Header=BB32_27 Depth=1
	ds_load_b32 v8, v1 offset:4096
	s_wait_dscnt 0x0
	v_add_nc_u32_e32 v7, v8, v7
	s_or_b32 exec_lo, exec_lo, s17
	s_and_saveexec_b32 s17, s1
	s_cbranch_execz .LBB32_29
.LBB32_45:                              ;   in Loop: Header=BB32_27 Depth=1
	ds_load_b32 v8, v1 offset:4100
	s_wait_dscnt 0x0
	v_add_nc_u32_e32 v7, v8, v7
	s_or_b32 exec_lo, exec_lo, s17
	s_and_saveexec_b32 s17, s2
	s_cbranch_execz .LBB32_30
.LBB32_46:                              ;   in Loop: Header=BB32_27 Depth=1
	ds_load_b32 v8, v1 offset:4104
	s_wait_dscnt 0x0
	v_add_nc_u32_e32 v7, v8, v7
	s_or_b32 exec_lo, exec_lo, s17
	s_and_saveexec_b32 s17, s3
	s_cbranch_execz .LBB32_31
.LBB32_47:                              ;   in Loop: Header=BB32_27 Depth=1
	ds_load_b32 v8, v1 offset:4108
	s_wait_dscnt 0x0
	v_add_nc_u32_e32 v7, v8, v7
	s_or_b32 exec_lo, exec_lo, s17
	s_and_saveexec_b32 s17, s4
	s_cbranch_execz .LBB32_32
.LBB32_48:                              ;   in Loop: Header=BB32_27 Depth=1
	ds_load_b32 v8, v1 offset:4112
	s_wait_dscnt 0x0
	v_add_nc_u32_e32 v7, v8, v7
	s_or_b32 exec_lo, exec_lo, s17
	s_and_saveexec_b32 s17, s5
	s_cbranch_execz .LBB32_33
.LBB32_49:                              ;   in Loop: Header=BB32_27 Depth=1
	ds_load_b32 v8, v1 offset:4116
	s_wait_dscnt 0x0
	v_add_nc_u32_e32 v7, v8, v7
	s_or_b32 exec_lo, exec_lo, s17
	s_and_saveexec_b32 s17, s6
	s_cbranch_execz .LBB32_34
.LBB32_50:                              ;   in Loop: Header=BB32_27 Depth=1
	ds_load_b32 v8, v1 offset:4120
	s_wait_dscnt 0x0
	v_add_nc_u32_e32 v7, v8, v7
	s_or_b32 exec_lo, exec_lo, s17
	s_and_saveexec_b32 s17, s7
	s_cbranch_execz .LBB32_35
.LBB32_51:                              ;   in Loop: Header=BB32_27 Depth=1
	ds_load_b32 v8, v1 offset:4124
	s_wait_dscnt 0x0
	v_add_nc_u32_e32 v7, v8, v7
	s_or_b32 exec_lo, exec_lo, s17
	s_and_saveexec_b32 s17, s8
	s_cbranch_execz .LBB32_36
.LBB32_52:                              ;   in Loop: Header=BB32_27 Depth=1
	ds_load_b32 v8, v1 offset:4128
	s_wait_dscnt 0x0
	v_add_nc_u32_e32 v7, v8, v7
	s_or_b32 exec_lo, exec_lo, s17
	s_and_saveexec_b32 s17, s9
	s_cbranch_execz .LBB32_37
.LBB32_53:                              ;   in Loop: Header=BB32_27 Depth=1
	ds_load_b32 v8, v1 offset:4132
	s_wait_dscnt 0x0
	v_add_nc_u32_e32 v7, v8, v7
	s_or_b32 exec_lo, exec_lo, s17
	s_and_saveexec_b32 s17, s10
	s_cbranch_execz .LBB32_38
.LBB32_54:                              ;   in Loop: Header=BB32_27 Depth=1
	ds_load_b32 v8, v1 offset:4136
	s_wait_dscnt 0x0
	v_add_nc_u32_e32 v7, v8, v7
	s_or_b32 exec_lo, exec_lo, s17
	s_and_saveexec_b32 s17, s11
	s_cbranch_execz .LBB32_39
.LBB32_55:                              ;   in Loop: Header=BB32_27 Depth=1
	ds_load_b32 v8, v1 offset:4140
	s_wait_dscnt 0x0
	v_add_nc_u32_e32 v7, v8, v7
	s_or_b32 exec_lo, exec_lo, s17
	s_and_saveexec_b32 s17, s12
	s_cbranch_execz .LBB32_40
.LBB32_56:                              ;   in Loop: Header=BB32_27 Depth=1
	ds_load_b32 v8, v1 offset:4144
	s_wait_dscnt 0x0
	v_add_nc_u32_e32 v7, v8, v7
	s_or_b32 exec_lo, exec_lo, s17
	s_and_saveexec_b32 s17, s13
	s_cbranch_execz .LBB32_41
.LBB32_57:                              ;   in Loop: Header=BB32_27 Depth=1
	ds_load_b32 v8, v1 offset:4148
	s_wait_dscnt 0x0
	v_add_nc_u32_e32 v7, v8, v7
	s_or_b32 exec_lo, exec_lo, s17
	s_and_saveexec_b32 s17, s14
	s_cbranch_execz .LBB32_42
.LBB32_58:                              ;   in Loop: Header=BB32_27 Depth=1
	ds_load_b32 v8, v1 offset:4152
	s_wait_dscnt 0x0
	v_add_nc_u32_e32 v7, v8, v7
	s_or_b32 exec_lo, exec_lo, s17
	s_and_saveexec_b32 s17, s15
	s_cbranch_execz .LBB32_43
.LBB32_59:                              ;   in Loop: Header=BB32_27 Depth=1
	s_delay_alu instid0(VALU_DEP_1) | instskip(NEXT) | instid1(VALU_DEP_1)
	v_dual_lshlrev_b32 v8, 2, v5 :: v_dual_lshlrev_b32 v9, 2, v7
	v_add_nc_u32_e32 v8, 0, v8
	s_delay_alu instid0(VALU_DEP_1)
	v_add3_u32 v8, v8, v9, -4
	ds_store_b32 v8, v6
	s_or_b32 exec_lo, exec_lo, s17
	s_and_saveexec_b32 s15, vcc_lo
	s_cbranch_execz .LBB32_26
.LBB32_60:                              ;   in Loop: Header=BB32_27 Depth=1
	ds_store_b32 v1, v7 offset:4156
	s_branch .LBB32_26
.LBB32_61:                              ;   in Loop: Header=BB32_62 Depth=1
	s_or_b32 exec_lo, exec_lo, s4
	v_add_nc_u64_e32 v[4:5], 0x200, v[4:5]
	s_delay_alu instid0(VALU_DEP_1) | instskip(SKIP_1) | instid1(SALU_CYCLE_1)
	v_cmp_le_i64_e32 vcc_lo, s[2:3], v[4:5]
	s_or_b32 s1, vcc_lo, s1
	s_and_not1_b32 exec_lo, exec_lo, s1
	s_cbranch_execz .LBB32_24
.LBB32_62:                              ; =>This Loop Header: Depth=1
                                        ;     Child Loop BB32_65 Depth 2
	v_lshl_add_u64 v[6:7], v[4:5], 2, s[10:11]
	s_mov_b32 s4, 0
                                        ; implicit-def: $sgpr5
	global_load_b32 v1, v[6:7], off
	s_wait_loadcnt 0x0
	v_subrev_nc_u32_e32 v1, s27, v1
	s_delay_alu instid0(VALU_DEP_1) | instskip(NEXT) | instid1(VALU_DEP_1)
	v_mul_lo_u32 v3, 0x89, v1
	v_and_b32_e32 v3, 0x3ff, v3
	s_branch .LBB32_65
.LBB32_63:                              ;   in Loop: Header=BB32_65 Depth=2
	s_or_b32 exec_lo, exec_lo, s7
	s_delay_alu instid0(SALU_CYCLE_1) | instskip(SKIP_1) | instid1(SALU_CYCLE_1)
	s_and_not1_b32 s5, s5, exec_lo
	s_and_b32 s7, s8, exec_lo
	s_or_b32 s5, s5, s7
.LBB32_64:                              ;   in Loop: Header=BB32_65 Depth=2
	s_or_b32 exec_lo, exec_lo, s6
	s_xor_b32 s6, s5, -1
	s_delay_alu instid0(SALU_CYCLE_1) | instskip(NEXT) | instid1(SALU_CYCLE_1)
	s_and_b32 s6, exec_lo, s6
	s_or_b32 s4, s6, s4
	s_delay_alu instid0(SALU_CYCLE_1)
	s_and_not1_b32 exec_lo, exec_lo, s4
	s_cbranch_execz .LBB32_61
.LBB32_65:                              ;   Parent Loop BB32_62 Depth=1
                                        ; =>  This Inner Loop Header: Depth=2
	s_delay_alu instid0(VALU_DEP_1)
	v_lshl_add_u32 v6, v3, 2, 0
	s_and_not1_b32 s5, s5, exec_lo
	s_mov_b32 s6, exec_lo
	ds_load_b32 v7, v6
	s_wait_dscnt 0x0
	v_cmpx_ne_u32_e64 v7, v1
	s_cbranch_execz .LBB32_64
; %bb.66:                               ;   in Loop: Header=BB32_65 Depth=2
	s_mov_b32 s7, exec_lo
	v_cmpx_ne_u32_e64 s30, v7
	s_xor_b32 s7, exec_lo, s7
; %bb.67:                               ;   in Loop: Header=BB32_65 Depth=2
	v_add_nc_u32_e32 v3, 1, v3
                                        ; implicit-def: $vgpr6
	s_delay_alu instid0(VALU_DEP_1)
	v_and_b32_e32 v3, 0x3ff, v3
; %bb.68:                               ;   in Loop: Header=BB32_65 Depth=2
	s_or_saveexec_b32 s7, s7
	s_mov_b32 s8, -1
	s_xor_b32 exec_lo, exec_lo, s7
	s_cbranch_execz .LBB32_63
; %bb.69:                               ;   in Loop: Header=BB32_65 Depth=2
	v_mov_b32_e32 v7, s30
	ds_cmpstore_rtn_b32 v6, v6, v1, v7
	s_wait_dscnt 0x0
	v_cmp_ne_u32_e32 vcc_lo, s30, v6
	s_or_not1_b32 s8, vcc_lo, exec_lo
	s_branch .LBB32_63
.LBB32_70:
	s_or_b32 exec_lo, exec_lo, s16
	s_wait_kmcnt 0x0
	s_ashr_i32 s29, s28, 31
	s_delay_alu instid0(SALU_CYCLE_1) | instskip(NEXT) | instid1(SALU_CYCLE_1)
	s_lshl_b64 s[0:1], s[28:29], 3
	s_add_nc_u64 s[4:5], s[20:21], s[0:1]
	s_load_b128 s[0:3], s[4:5], 0x0
	s_wait_xcnt 0x0
	s_mov_b32 s4, exec_lo
	s_wait_kmcnt 0x0
	s_sub_co_i32 s3, s2, s0
	s_delay_alu instid0(SALU_CYCLE_1)
	v_cmpx_gt_i32_e64 s3, v0
	s_cbranch_execz .LBB32_80
; %bb.71:
	s_sub_co_i32 s4, s0, s2
	s_and_b32 s2, s3, 7
	s_cmp_lt_u32 s4, -7
	s_mov_b32 s27, 0
	s_cselect_b32 s4, -1, 0
	s_and_b32 s5, s3, -8
	s_cmp_lg_u32 s2, 0
	s_sub_nc_u64 s[0:1], s[0:1], s[26:27]
	s_cselect_b32 s6, -1, 0
	s_mov_b32 s7, 0
	s_branch .LBB32_73
.LBB32_72:                              ;   in Loop: Header=BB32_73 Depth=1
	v_add_nc_u32_e32 v0, 0x200, v0
	s_wait_dscnt 0x0
	v_add_nc_u32_e32 v1, s26, v1
	s_delay_alu instid0(VALU_DEP_3) | instskip(NEXT) | instid1(VALU_DEP_3)
	v_lshl_add_u64 v[2:3], v[2:3], 2, s[22:23]
	v_cmp_le_i32_e32 vcc_lo, s3, v0
	global_store_b32 v[2:3], v1, off
	s_or_b32 s7, vcc_lo, s7
	s_wait_xcnt 0x0
	s_and_not1_b32 exec_lo, exec_lo, s7
	s_cbranch_execz .LBB32_80
.LBB32_73:                              ; =>This Loop Header: Depth=1
                                        ;     Child Loop BB32_75 Depth 2
                                        ;     Child Loop BB32_79 Depth 2
	v_lshl_add_u32 v1, v0, 2, 0
	v_mov_b64_e32 v[2:3], s[0:1]
	s_and_not1_b32 vcc_lo, exec_lo, s4
	s_mov_b32 s8, 0
	ds_load_b32 v1, v1
	s_cbranch_vccnz .LBB32_77
; %bb.74:                               ;   in Loop: Header=BB32_73 Depth=1
	v_mov_b64_e32 v[2:3], s[0:1]
	s_mov_b32 s9, 0
.LBB32_75:                              ;   Parent Loop BB32_73 Depth=1
                                        ; =>  This Inner Loop Header: Depth=2
	s_delay_alu instid0(SALU_CYCLE_1)
	v_dual_mov_b32 v8, s9 :: v_dual_mov_b32 v9, s27
	v_mov_b32_e32 v15, s27
	s_add_co_i32 s8, s8, 8
	s_add_co_i32 s9, s9, 32
	ds_load_2addr_b32 v[4:5], v8 offset1:1
	ds_load_2addr_b32 v[6:7], v8 offset0:2 offset1:3
	ds_load_2addr_b32 v[10:11], v8 offset0:4 offset1:5
	;; [unrolled: 1-line block ×3, first 2 shown]
	s_cmp_eq_u32 s5, s8
	s_wait_dscnt 0x3
	v_cmp_gt_i32_e32 vcc_lo, v1, v4
	v_cndmask_b32_e64 v8, 0, 1, vcc_lo
	v_cmp_gt_i32_e32 vcc_lo, v1, v5
	v_mov_b32_e32 v5, s27
	s_delay_alu instid0(VALU_DEP_3) | instskip(SKIP_4) | instid1(VALU_DEP_3)
	v_add_nc_u64_e32 v[2:3], v[2:3], v[8:9]
	v_cndmask_b32_e64 v14, 0, 1, vcc_lo
	s_wait_dscnt 0x2
	v_cmp_gt_i32_e32 vcc_lo, v1, v6
	v_cndmask_b32_e64 v4, 0, 1, vcc_lo
	v_add_nc_u64_e32 v[2:3], v[2:3], v[14:15]
	v_cmp_gt_i32_e32 vcc_lo, v1, v7
	v_mov_b32_e32 v7, s27
	v_cndmask_b32_e64 v8, 0, 1, vcc_lo
	s_delay_alu instid0(VALU_DEP_4) | instskip(SKIP_3) | instid1(VALU_DEP_3)
	v_add_nc_u64_e32 v[2:3], v[2:3], v[4:5]
	s_wait_dscnt 0x1
	v_cmp_gt_i32_e32 vcc_lo, v1, v10
	v_cndmask_b32_e64 v4, 0, 1, vcc_lo
	v_add_nc_u64_e32 v[2:3], v[2:3], v[8:9]
	v_cmp_gt_i32_e32 vcc_lo, v1, v11
	v_cndmask_b32_e64 v6, 0, 1, vcc_lo
	s_delay_alu instid0(VALU_DEP_3) | instskip(SKIP_3) | instid1(VALU_DEP_3)
	v_add_nc_u64_e32 v[2:3], v[2:3], v[4:5]
	s_wait_dscnt 0x0
	v_cmp_gt_i32_e32 vcc_lo, v1, v12
	v_cndmask_b32_e64 v4, 0, 1, vcc_lo
	v_add_nc_u64_e32 v[2:3], v[2:3], v[6:7]
	v_cmp_gt_i32_e32 vcc_lo, v1, v13
	v_cndmask_b32_e64 v6, 0, 1, vcc_lo
	s_delay_alu instid0(VALU_DEP_3) | instskip(NEXT) | instid1(VALU_DEP_1)
	v_add_nc_u64_e32 v[2:3], v[2:3], v[4:5]
	v_add_nc_u64_e32 v[2:3], v[2:3], v[6:7]
	s_cbranch_scc0 .LBB32_75
; %bb.76:                               ;   in Loop: Header=BB32_73 Depth=1
	s_mov_b32 s8, s5
.LBB32_77:                              ;   in Loop: Header=BB32_73 Depth=1
	s_and_not1_b32 vcc_lo, exec_lo, s6
	s_cbranch_vccnz .LBB32_72
; %bb.78:                               ;   in Loop: Header=BB32_73 Depth=1
	s_lshl_b32 s8, s8, 2
	s_mov_b32 s9, s2
	s_add_co_i32 s8, s8, 0
.LBB32_79:                              ;   Parent Loop BB32_73 Depth=1
                                        ; =>  This Inner Loop Header: Depth=2
	s_delay_alu instid0(SALU_CYCLE_1)
	v_dual_mov_b32 v4, s8 :: v_dual_mov_b32 v5, s27
	s_add_co_i32 s9, s9, -1
	s_add_co_i32 s8, s8, 4
	s_cmp_lg_u32 s9, 0
	ds_load_b32 v4, v4
	s_wait_dscnt 0x0
	v_cmp_gt_i32_e32 vcc_lo, v1, v4
	v_cndmask_b32_e64 v4, 0, 1, vcc_lo
	s_delay_alu instid0(VALU_DEP_1)
	v_add_nc_u64_e32 v[2:3], v[2:3], v[4:5]
	s_cbranch_scc1 .LBB32_79
	s_branch .LBB32_72
.LBB32_80:
	s_endpgm
	.section	.rodata,"a",@progbits
	.p2align	6, 0x0
	.amdhsa_kernel _ZN9rocsparseL35csrgemm_symbolic_fill_block_per_rowILj512ELj32ELj1024ELj137ELj32EliEEvT5_PKS1_S3_PKT4_S3_S6_S3_S6_S3_S6_PS1_21rocsparse_index_base_S8_S8_S8_bb
		.amdhsa_group_segment_fixed_size 0
		.amdhsa_private_segment_fixed_size 0
		.amdhsa_kernarg_size 108
		.amdhsa_user_sgpr_count 2
		.amdhsa_user_sgpr_dispatch_ptr 0
		.amdhsa_user_sgpr_queue_ptr 0
		.amdhsa_user_sgpr_kernarg_segment_ptr 1
		.amdhsa_user_sgpr_dispatch_id 0
		.amdhsa_user_sgpr_kernarg_preload_length 0
		.amdhsa_user_sgpr_kernarg_preload_offset 0
		.amdhsa_user_sgpr_private_segment_size 0
		.amdhsa_wavefront_size32 1
		.amdhsa_uses_dynamic_stack 0
		.amdhsa_enable_private_segment 0
		.amdhsa_system_sgpr_workgroup_id_x 1
		.amdhsa_system_sgpr_workgroup_id_y 0
		.amdhsa_system_sgpr_workgroup_id_z 0
		.amdhsa_system_sgpr_workgroup_info 0
		.amdhsa_system_vgpr_workitem_id 0
		.amdhsa_next_free_vgpr 18
		.amdhsa_next_free_sgpr 40
		.amdhsa_named_barrier_count 0
		.amdhsa_reserve_vcc 1
		.amdhsa_float_round_mode_32 0
		.amdhsa_float_round_mode_16_64 0
		.amdhsa_float_denorm_mode_32 3
		.amdhsa_float_denorm_mode_16_64 3
		.amdhsa_fp16_overflow 0
		.amdhsa_memory_ordered 1
		.amdhsa_forward_progress 1
		.amdhsa_inst_pref_size 22
		.amdhsa_round_robin_scheduling 0
		.amdhsa_exception_fp_ieee_invalid_op 0
		.amdhsa_exception_fp_denorm_src 0
		.amdhsa_exception_fp_ieee_div_zero 0
		.amdhsa_exception_fp_ieee_overflow 0
		.amdhsa_exception_fp_ieee_underflow 0
		.amdhsa_exception_fp_ieee_inexact 0
		.amdhsa_exception_int_div_zero 0
	.end_amdhsa_kernel
	.section	.text._ZN9rocsparseL35csrgemm_symbolic_fill_block_per_rowILj512ELj32ELj1024ELj137ELj32EliEEvT5_PKS1_S3_PKT4_S3_S6_S3_S6_S3_S6_PS1_21rocsparse_index_base_S8_S8_S8_bb,"axG",@progbits,_ZN9rocsparseL35csrgemm_symbolic_fill_block_per_rowILj512ELj32ELj1024ELj137ELj32EliEEvT5_PKS1_S3_PKT4_S3_S6_S3_S6_S3_S6_PS1_21rocsparse_index_base_S8_S8_S8_bb,comdat
.Lfunc_end32:
	.size	_ZN9rocsparseL35csrgemm_symbolic_fill_block_per_rowILj512ELj32ELj1024ELj137ELj32EliEEvT5_PKS1_S3_PKT4_S3_S6_S3_S6_S3_S6_PS1_21rocsparse_index_base_S8_S8_S8_bb, .Lfunc_end32-_ZN9rocsparseL35csrgemm_symbolic_fill_block_per_rowILj512ELj32ELj1024ELj137ELj32EliEEvT5_PKS1_S3_PKT4_S3_S6_S3_S6_S3_S6_PS1_21rocsparse_index_base_S8_S8_S8_bb
                                        ; -- End function
	.set _ZN9rocsparseL35csrgemm_symbolic_fill_block_per_rowILj512ELj32ELj1024ELj137ELj32EliEEvT5_PKS1_S3_PKT4_S3_S6_S3_S6_S3_S6_PS1_21rocsparse_index_base_S8_S8_S8_bb.num_vgpr, 18
	.set _ZN9rocsparseL35csrgemm_symbolic_fill_block_per_rowILj512ELj32ELj1024ELj137ELj32EliEEvT5_PKS1_S3_PKT4_S3_S6_S3_S6_S3_S6_PS1_21rocsparse_index_base_S8_S8_S8_bb.num_agpr, 0
	.set _ZN9rocsparseL35csrgemm_symbolic_fill_block_per_rowILj512ELj32ELj1024ELj137ELj32EliEEvT5_PKS1_S3_PKT4_S3_S6_S3_S6_S3_S6_PS1_21rocsparse_index_base_S8_S8_S8_bb.numbered_sgpr, 40
	.set _ZN9rocsparseL35csrgemm_symbolic_fill_block_per_rowILj512ELj32ELj1024ELj137ELj32EliEEvT5_PKS1_S3_PKT4_S3_S6_S3_S6_S3_S6_PS1_21rocsparse_index_base_S8_S8_S8_bb.num_named_barrier, 0
	.set _ZN9rocsparseL35csrgemm_symbolic_fill_block_per_rowILj512ELj32ELj1024ELj137ELj32EliEEvT5_PKS1_S3_PKT4_S3_S6_S3_S6_S3_S6_PS1_21rocsparse_index_base_S8_S8_S8_bb.private_seg_size, 0
	.set _ZN9rocsparseL35csrgemm_symbolic_fill_block_per_rowILj512ELj32ELj1024ELj137ELj32EliEEvT5_PKS1_S3_PKT4_S3_S6_S3_S6_S3_S6_PS1_21rocsparse_index_base_S8_S8_S8_bb.uses_vcc, 1
	.set _ZN9rocsparseL35csrgemm_symbolic_fill_block_per_rowILj512ELj32ELj1024ELj137ELj32EliEEvT5_PKS1_S3_PKT4_S3_S6_S3_S6_S3_S6_PS1_21rocsparse_index_base_S8_S8_S8_bb.uses_flat_scratch, 0
	.set _ZN9rocsparseL35csrgemm_symbolic_fill_block_per_rowILj512ELj32ELj1024ELj137ELj32EliEEvT5_PKS1_S3_PKT4_S3_S6_S3_S6_S3_S6_PS1_21rocsparse_index_base_S8_S8_S8_bb.has_dyn_sized_stack, 0
	.set _ZN9rocsparseL35csrgemm_symbolic_fill_block_per_rowILj512ELj32ELj1024ELj137ELj32EliEEvT5_PKS1_S3_PKT4_S3_S6_S3_S6_S3_S6_PS1_21rocsparse_index_base_S8_S8_S8_bb.has_recursion, 0
	.set _ZN9rocsparseL35csrgemm_symbolic_fill_block_per_rowILj512ELj32ELj1024ELj137ELj32EliEEvT5_PKS1_S3_PKT4_S3_S6_S3_S6_S3_S6_PS1_21rocsparse_index_base_S8_S8_S8_bb.has_indirect_call, 0
	.section	.AMDGPU.csdata,"",@progbits
; Kernel info:
; codeLenInByte = 2808
; TotalNumSgprs: 42
; NumVgprs: 18
; ScratchSize: 0
; MemoryBound: 0
; FloatMode: 240
; IeeeMode: 1
; LDSByteSize: 0 bytes/workgroup (compile time only)
; SGPRBlocks: 0
; VGPRBlocks: 1
; NumSGPRsForWavesPerEU: 42
; NumVGPRsForWavesPerEU: 18
; NamedBarCnt: 0
; Occupancy: 16
; WaveLimiterHint : 1
; COMPUTE_PGM_RSRC2:SCRATCH_EN: 0
; COMPUTE_PGM_RSRC2:USER_SGPR: 2
; COMPUTE_PGM_RSRC2:TRAP_HANDLER: 0
; COMPUTE_PGM_RSRC2:TGID_X_EN: 1
; COMPUTE_PGM_RSRC2:TGID_Y_EN: 0
; COMPUTE_PGM_RSRC2:TGID_Z_EN: 0
; COMPUTE_PGM_RSRC2:TIDIG_COMP_CNT: 0
	.section	.text._ZN9rocsparseL35csrgemm_symbolic_fill_block_per_rowILj512ELj32ELj1024ELj137ELj64EliEEvT5_PKS1_S3_PKT4_S3_S6_S3_S6_S3_S6_PS1_21rocsparse_index_base_S8_S8_S8_bb,"axG",@progbits,_ZN9rocsparseL35csrgemm_symbolic_fill_block_per_rowILj512ELj32ELj1024ELj137ELj64EliEEvT5_PKS1_S3_PKT4_S3_S6_S3_S6_S3_S6_PS1_21rocsparse_index_base_S8_S8_S8_bb,comdat
	.globl	_ZN9rocsparseL35csrgemm_symbolic_fill_block_per_rowILj512ELj32ELj1024ELj137ELj64EliEEvT5_PKS1_S3_PKT4_S3_S6_S3_S6_S3_S6_PS1_21rocsparse_index_base_S8_S8_S8_bb ; -- Begin function _ZN9rocsparseL35csrgemm_symbolic_fill_block_per_rowILj512ELj32ELj1024ELj137ELj64EliEEvT5_PKS1_S3_PKT4_S3_S6_S3_S6_S3_S6_PS1_21rocsparse_index_base_S8_S8_S8_bb
	.p2align	8
	.type	_ZN9rocsparseL35csrgemm_symbolic_fill_block_per_rowILj512ELj32ELj1024ELj137ELj64EliEEvT5_PKS1_S3_PKT4_S3_S6_S3_S6_S3_S6_PS1_21rocsparse_index_base_S8_S8_S8_bb,@function
_ZN9rocsparseL35csrgemm_symbolic_fill_block_per_rowILj512ELj32ELj1024ELj137ELj64EliEEvT5_PKS1_S3_PKT4_S3_S6_S3_S6_S3_S6_PS1_21rocsparse_index_base_S8_S8_S8_bb: ; @_ZN9rocsparseL35csrgemm_symbolic_fill_block_per_rowILj512ELj32ELj1024ELj137ELj64EliEEvT5_PKS1_S3_PKT4_S3_S6_S3_S6_S3_S6_PS1_21rocsparse_index_base_S8_S8_S8_bb
; %bb.0:
	s_clause 0x3
	s_load_b128 s[20:23], s[0:1], 0x48
	s_load_b256 s[4:11], s[0:1], 0x28
	s_load_b32 s28, s[0:1], 0x0
	s_load_b256 s[12:19], s[0:1], 0x8
	v_lshl_add_u32 v10, v0, 2, 0
	s_mov_b32 s24, 0
	s_mov_b32 s2, 0
	s_delay_alu instid0(VALU_DEP_1)
	v_mov_b32_e32 v1, v10
	s_branch .LBB33_2
.LBB33_1:                               ;   in Loop: Header=BB33_2 Depth=1
	s_or_b32 exec_lo, exec_lo, s25
	s_add_co_i32 s2, s2, 2
	v_add_nc_u32_e32 v1, 0x1000, v1
	v_cmp_eq_u32_e64 s3, 2, s2
	s_or_b32 s24, s3, s24
	s_delay_alu instid0(SALU_CYCLE_1)
	s_and_not1_b32 exec_lo, exec_lo, s24
	s_cbranch_execz .LBB33_6
.LBB33_2:                               ; =>This Inner Loop Header: Depth=1
	s_mov_b32 s3, s2
	s_mov_b32 s25, exec_lo
	s_or_b64 s[26:27], s[2:3], 0x100000000
	s_delay_alu instid0(SALU_CYCLE_1)
	v_cmp_le_u32_e64 s3, s27, 1
	v_cmpx_le_u32_e64 s26, 1
	s_cbranch_execz .LBB33_4
; %bb.3:                                ;   in Loop: Header=BB33_2 Depth=1
	s_wait_kmcnt 0x0
	v_mov_b32_e32 v2, s28
	ds_store_b32 v1, v2
.LBB33_4:                               ;   in Loop: Header=BB33_2 Depth=1
	s_or_b32 exec_lo, exec_lo, s25
	s_and_saveexec_b32 s25, s3
	s_cbranch_execz .LBB33_1
; %bb.5:                                ;   in Loop: Header=BB33_2 Depth=1
	s_wait_kmcnt 0x0
	v_mov_b32_e32 v2, s28
	ds_store_b32 v1, v2 offset:2048
	s_branch .LBB33_1
.LBB33_6:
	s_or_b32 exec_lo, exec_lo, s24
	s_wait_dscnt 0x0
	s_barrier_signal -1
	s_barrier_wait -1
	s_wait_kmcnt 0x0
	s_load_b32 s2, s[12:13], 0x0
	s_bfe_u32 s3, ttmp6, 0x4000c
	s_wait_xcnt 0x0
	s_and_b32 s12, ttmp6, 15
	s_add_co_i32 s3, s3, 1
	s_getreg_b32 s13, hwreg(HW_REG_IB_STS2, 6, 4)
	s_mul_i32 s3, ttmp9, s3
	s_load_b32 s29, s[0:1], 0x68
	s_add_co_i32 s12, s12, s3
	s_cmp_eq_u32 s13, 0
	s_cselect_b32 s3, ttmp9, s12
	s_wait_kmcnt 0x0
	s_add_co_i32 s2, s2, s3
	s_load_b128 s[24:27], s[0:1], 0x58
	s_load_b32 s12, s[14:15], s2 offset:0x0 scale_offset
	s_wait_xcnt 0x0
	s_mov_b32 s1, 0
	s_bitcmp0_b32 s29, 0
	s_cbranch_scc1 .LBB33_22
; %bb.7:
	s_wait_kmcnt 0x0
	s_ashr_i32 s13, s12, 31
	v_dual_mov_b32 v5, 0 :: v_dual_lshrrev_b32 v4, 5, v0
	s_lshl_b64 s[2:3], s[12:13], 3
	s_mov_b32 s0, s24
	s_add_nc_u64 s[2:3], s[16:17], s[2:3]
	s_mov_b32 s13, exec_lo
	s_load_b128 s[36:39], s[2:3], 0x0
	v_sub_nc_u64_e64 v[2:3], v[4:5], s[0:1]
	s_wait_kmcnt 0x0
	s_delay_alu instid0(VALU_DEP_1)
	v_add_nc_u64_e32 v[2:3], s[36:37], v[2:3]
	s_sub_nc_u64 s[0:1], s[38:39], s[0:1]
	s_delay_alu instid0(VALU_DEP_1) | instid1(SALU_CYCLE_1)
	v_cmpx_gt_i64_e64 s[0:1], v[2:3]
	s_cbranch_execz .LBB33_21
; %bb.8:
	v_and_b32_e32 v4, 31, v0
	s_mov_b32 s3, 0
	s_mov_b32 s2, s25
	;; [unrolled: 1-line block ×3, first 2 shown]
	s_delay_alu instid0(VALU_DEP_1)
	v_sub_nc_u64_e64 v[4:5], v[4:5], s[2:3]
	s_branch .LBB33_10
.LBB33_9:                               ;   in Loop: Header=BB33_10 Depth=1
	s_or_b32 exec_lo, exec_lo, s15
	v_add_nc_u64_e32 v[2:3], 16, v[2:3]
	s_delay_alu instid0(VALU_DEP_1) | instskip(SKIP_1) | instid1(SALU_CYCLE_1)
	v_cmp_le_i64_e32 vcc_lo, s[0:1], v[2:3]
	s_or_b32 s14, vcc_lo, s14
	s_and_not1_b32 exec_lo, exec_lo, s14
	s_cbranch_execz .LBB33_21
.LBB33_10:                              ; =>This Loop Header: Depth=1
                                        ;     Child Loop BB33_13 Depth 2
                                        ;       Child Loop BB33_16 Depth 3
	v_lshl_add_u64 v[6:7], v[2:3], 2, s[18:19]
	s_mov_b32 s15, exec_lo
	global_load_b32 v1, v[6:7], off
	s_wait_loadcnt 0x0
	v_subrev_nc_u32_e32 v6, s24, v1
	s_delay_alu instid0(VALU_DEP_1) | instskip(NEXT) | instid1(VALU_DEP_1)
	v_ashrrev_i32_e32 v7, 31, v6
	v_lshl_add_u64 v[6:7], v[6:7], 3, s[4:5]
	global_load_b128 v[12:15], v[6:7], off
	s_wait_loadcnt 0x0
	v_sub_nc_u64_e64 v[6:7], v[14:15], s[2:3]
	v_add_nc_u64_e32 v[8:9], v[12:13], v[4:5]
	s_delay_alu instid0(VALU_DEP_1)
	v_cmpx_lt_i64_e64 v[8:9], v[6:7]
	s_cbranch_execz .LBB33_9
; %bb.11:                               ;   in Loop: Header=BB33_10 Depth=1
	s_mov_b32 s16, 0
	s_branch .LBB33_13
.LBB33_12:                              ;   in Loop: Header=BB33_13 Depth=2
	s_or_b32 exec_lo, exec_lo, s17
	v_add_nc_u64_e32 v[8:9], 32, v[8:9]
	s_delay_alu instid0(VALU_DEP_1) | instskip(SKIP_1) | instid1(SALU_CYCLE_1)
	v_cmp_ge_i64_e32 vcc_lo, v[8:9], v[6:7]
	s_or_b32 s16, vcc_lo, s16
	s_and_not1_b32 exec_lo, exec_lo, s16
	s_cbranch_execz .LBB33_9
.LBB33_13:                              ;   Parent Loop BB33_10 Depth=1
                                        ; =>  This Loop Header: Depth=2
                                        ;       Child Loop BB33_16 Depth 3
	v_lshl_add_u64 v[12:13], v[8:9], 2, s[6:7]
	s_mov_b32 s17, 0
                                        ; implicit-def: $sgpr30
	global_load_b32 v1, v[12:13], off
	s_wait_loadcnt 0x0
	v_subrev_nc_u32_e32 v1, s25, v1
	s_delay_alu instid0(VALU_DEP_1) | instskip(NEXT) | instid1(VALU_DEP_1)
	v_mul_lo_u32 v11, 0x89, v1
	v_and_b32_e32 v11, 0x3ff, v11
	s_branch .LBB33_16
.LBB33_14:                              ;   in Loop: Header=BB33_16 Depth=3
	s_or_b32 exec_lo, exec_lo, s33
	s_delay_alu instid0(SALU_CYCLE_1) | instskip(SKIP_1) | instid1(SALU_CYCLE_1)
	s_and_not1_b32 s30, s30, exec_lo
	s_and_b32 s33, s34, exec_lo
	s_or_b32 s30, s30, s33
.LBB33_15:                              ;   in Loop: Header=BB33_16 Depth=3
	s_or_b32 exec_lo, exec_lo, s31
	s_xor_b32 s31, s30, -1
	s_delay_alu instid0(SALU_CYCLE_1) | instskip(NEXT) | instid1(SALU_CYCLE_1)
	s_and_b32 s31, exec_lo, s31
	s_or_b32 s17, s31, s17
	s_delay_alu instid0(SALU_CYCLE_1)
	s_and_not1_b32 exec_lo, exec_lo, s17
	s_cbranch_execz .LBB33_12
.LBB33_16:                              ;   Parent Loop BB33_10 Depth=1
                                        ;     Parent Loop BB33_13 Depth=2
                                        ; =>    This Inner Loop Header: Depth=3
	s_delay_alu instid0(VALU_DEP_1)
	v_lshl_add_u32 v12, v11, 2, 0
	s_and_not1_b32 s30, s30, exec_lo
	s_mov_b32 s31, exec_lo
	ds_load_b32 v13, v12
	s_wait_dscnt 0x0
	v_cmpx_ne_u32_e64 v13, v1
	s_cbranch_execz .LBB33_15
; %bb.17:                               ;   in Loop: Header=BB33_16 Depth=3
	s_mov_b32 s33, exec_lo
	v_cmpx_ne_u32_e64 s28, v13
	s_xor_b32 s33, exec_lo, s33
; %bb.18:                               ;   in Loop: Header=BB33_16 Depth=3
	v_add_nc_u32_e32 v11, 1, v11
                                        ; implicit-def: $vgpr12
	s_delay_alu instid0(VALU_DEP_1)
	v_and_b32_e32 v11, 0x3ff, v11
; %bb.19:                               ;   in Loop: Header=BB33_16 Depth=3
	s_or_saveexec_b32 s33, s33
	s_mov_b32 s34, -1
	s_xor_b32 exec_lo, exec_lo, s33
	s_cbranch_execz .LBB33_14
; %bb.20:                               ;   in Loop: Header=BB33_16 Depth=3
	v_mov_b32_e32 v13, s28
	ds_cmpstore_rtn_b32 v12, v12, v1, v13
	s_wait_dscnt 0x0
	v_cmp_ne_u32_e32 vcc_lo, s28, v12
	s_or_not1_b32 s34, vcc_lo, exec_lo
	s_branch .LBB33_14
.LBB33_21:
	s_or_b32 exec_lo, exec_lo, s13
.LBB33_22:
	s_bfe_u32 s0, s29, 0x10008
	s_delay_alu instid0(SALU_CYCLE_1)
	s_cmp_eq_u32 s0, 0
	s_cbranch_scc1 .LBB33_25
; %bb.23:
	s_wait_kmcnt 0x0
	s_ashr_i32 s13, s12, 31
	v_mov_b32_e32 v1, 0
	s_lshl_b64 s[0:1], s[12:13], 3
	s_delay_alu instid0(SALU_CYCLE_1) | instskip(SKIP_4) | instid1(SALU_CYCLE_1)
	s_add_nc_u64 s[0:1], s[8:9], s[0:1]
	s_load_b128 s[4:7], s[0:1], 0x0
	s_wait_xcnt 0x0
	s_mov_b32 s1, 0
	s_mov_b32 s0, s27
	v_sub_nc_u64_e64 v[2:3], v[0:1], s[0:1]
	s_wait_kmcnt 0x0
	s_delay_alu instid0(VALU_DEP_1) | instskip(SKIP_2) | instid1(VALU_DEP_1)
	v_add_nc_u64_e32 v[2:3], s[4:5], v[2:3]
	s_sub_nc_u64 s[2:3], s[6:7], s[0:1]
	s_mov_b32 s0, exec_lo
	v_cmpx_gt_i64_e64 s[2:3], v[2:3]
	s_cbranch_execnz .LBB33_46
.LBB33_24:
	s_or_b32 exec_lo, exec_lo, s0
.LBB33_25:
	v_mbcnt_lo_u32_b32 v2, -1, 0
	v_dual_lshrrev_b32 v3, 4, v0 :: v_dual_mov_b32 v1, 0
	v_cmp_lt_u32_e64 s0, 63, v0
	v_cmp_lt_u32_e64 s1, 0x7f, v0
	s_delay_alu instid0(VALU_DEP_3)
	v_dual_mov_b32 v5, 0 :: v_dual_bitop2_b32 v3, 28, v3 bitop3:0x40
	v_xor_b32_e32 v2, 31, v2
	v_cmp_lt_u32_e64 s2, 0xbf, v0
	v_cmp_lt_u32_e64 s3, 0xff, v0
	;; [unrolled: 1-line block ×3, first 2 shown]
	v_add_nc_u32_e32 v3, 0, v3
	v_lshrrev_b32_e64 v2, v2, -1
	v_cmp_lt_u32_e64 s5, 0x17f, v0
	v_cmp_lt_u32_e64 s6, 0x1bf, v0
	v_or_b32_e32 v4, 0xfffffe00, v0
	s_mov_b32 s8, 0
	v_cmp_eq_u32_e32 vcc_lo, 0x1ff, v0
	s_barrier_signal -1
	s_barrier_wait -1
	s_branch .LBB33_27
.LBB33_26:                              ;   in Loop: Header=BB33_27 Depth=1
	s_or_b32 exec_lo, exec_lo, s7
	s_wait_dscnt 0x0
	s_barrier_signal -1
	s_barrier_wait -1
	ds_load_b32 v6, v1 offset:4124
	v_add_co_u32 v4, s7, 0x200, v4
	s_xor_b32 s7, s7, -1
	v_add_nc_u32_e32 v10, 0x800, v10
	s_and_b32 s7, exec_lo, s7
	s_delay_alu instid0(SALU_CYCLE_1)
	s_or_b32 s8, s7, s8
	s_wait_dscnt 0x0
	v_add_nc_u32_e32 v5, v6, v5
	s_and_not1_b32 exec_lo, exec_lo, s8
	s_cbranch_execz .LBB33_54
.LBB33_27:                              ; =>This Inner Loop Header: Depth=1
	ds_load_b32 v6, v10
	s_wait_dscnt 0x0
	s_barrier_signal -1
	s_barrier_wait -1
	v_cmp_gt_i32_e64 s7, s28, v6
	s_bcnt1_i32_b32 s9, s7
	s_delay_alu instid0(SALU_CYCLE_1) | instskip(NEXT) | instid1(VALU_DEP_1)
	v_dual_mov_b32 v8, s9 :: v_dual_bitop2_b32 v7, s7, v2 bitop3:0x40
	v_bcnt_u32_b32 v7, v7, 0
	ds_store_b32 v3, v8 offset:4096
	s_wait_dscnt 0x0
	s_barrier_signal -1
	s_barrier_wait -1
	s_and_saveexec_b32 s9, s0
	s_cbranch_execnz .LBB33_36
; %bb.28:                               ;   in Loop: Header=BB33_27 Depth=1
	s_or_b32 exec_lo, exec_lo, s9
	s_and_saveexec_b32 s9, s1
	s_cbranch_execnz .LBB33_37
.LBB33_29:                              ;   in Loop: Header=BB33_27 Depth=1
	s_or_b32 exec_lo, exec_lo, s9
	s_and_saveexec_b32 s9, s2
	s_cbranch_execnz .LBB33_38
.LBB33_30:                              ;   in Loop: Header=BB33_27 Depth=1
	s_or_b32 exec_lo, exec_lo, s9
	s_and_saveexec_b32 s9, s3
	s_cbranch_execnz .LBB33_39
.LBB33_31:                              ;   in Loop: Header=BB33_27 Depth=1
	s_or_b32 exec_lo, exec_lo, s9
	s_and_saveexec_b32 s9, s4
	s_cbranch_execnz .LBB33_40
.LBB33_32:                              ;   in Loop: Header=BB33_27 Depth=1
	s_or_b32 exec_lo, exec_lo, s9
	s_and_saveexec_b32 s9, s5
	s_cbranch_execnz .LBB33_41
.LBB33_33:                              ;   in Loop: Header=BB33_27 Depth=1
	s_or_b32 exec_lo, exec_lo, s9
	s_and_saveexec_b32 s9, s6
	s_cbranch_execnz .LBB33_42
.LBB33_34:                              ;   in Loop: Header=BB33_27 Depth=1
	s_or_b32 exec_lo, exec_lo, s9
	s_and_saveexec_b32 s9, s7
	s_cbranch_execnz .LBB33_43
.LBB33_35:                              ;   in Loop: Header=BB33_27 Depth=1
	s_or_b32 exec_lo, exec_lo, s9
	s_and_saveexec_b32 s7, vcc_lo
	s_cbranch_execz .LBB33_26
	s_branch .LBB33_44
.LBB33_36:                              ;   in Loop: Header=BB33_27 Depth=1
	ds_load_b32 v8, v1 offset:4096
	s_wait_dscnt 0x0
	v_add_nc_u32_e32 v7, v8, v7
	s_or_b32 exec_lo, exec_lo, s9
	s_and_saveexec_b32 s9, s1
	s_cbranch_execz .LBB33_29
.LBB33_37:                              ;   in Loop: Header=BB33_27 Depth=1
	ds_load_b32 v8, v1 offset:4100
	s_wait_dscnt 0x0
	v_add_nc_u32_e32 v7, v8, v7
	s_or_b32 exec_lo, exec_lo, s9
	s_and_saveexec_b32 s9, s2
	s_cbranch_execz .LBB33_30
.LBB33_38:                              ;   in Loop: Header=BB33_27 Depth=1
	ds_load_b32 v8, v1 offset:4104
	s_wait_dscnt 0x0
	v_add_nc_u32_e32 v7, v8, v7
	s_or_b32 exec_lo, exec_lo, s9
	s_and_saveexec_b32 s9, s3
	s_cbranch_execz .LBB33_31
.LBB33_39:                              ;   in Loop: Header=BB33_27 Depth=1
	ds_load_b32 v8, v1 offset:4108
	s_wait_dscnt 0x0
	v_add_nc_u32_e32 v7, v8, v7
	s_or_b32 exec_lo, exec_lo, s9
	s_and_saveexec_b32 s9, s4
	s_cbranch_execz .LBB33_32
.LBB33_40:                              ;   in Loop: Header=BB33_27 Depth=1
	ds_load_b32 v8, v1 offset:4112
	s_wait_dscnt 0x0
	v_add_nc_u32_e32 v7, v8, v7
	s_or_b32 exec_lo, exec_lo, s9
	s_and_saveexec_b32 s9, s5
	s_cbranch_execz .LBB33_33
.LBB33_41:                              ;   in Loop: Header=BB33_27 Depth=1
	ds_load_b32 v8, v1 offset:4116
	s_wait_dscnt 0x0
	v_add_nc_u32_e32 v7, v8, v7
	s_or_b32 exec_lo, exec_lo, s9
	s_and_saveexec_b32 s9, s6
	s_cbranch_execz .LBB33_34
.LBB33_42:                              ;   in Loop: Header=BB33_27 Depth=1
	ds_load_b32 v8, v1 offset:4120
	s_wait_dscnt 0x0
	v_add_nc_u32_e32 v7, v8, v7
	s_or_b32 exec_lo, exec_lo, s9
	s_and_saveexec_b32 s9, s7
	s_cbranch_execz .LBB33_35
.LBB33_43:                              ;   in Loop: Header=BB33_27 Depth=1
	s_delay_alu instid0(VALU_DEP_1) | instskip(NEXT) | instid1(VALU_DEP_1)
	v_dual_lshlrev_b32 v8, 2, v5 :: v_dual_lshlrev_b32 v9, 2, v7
	v_add_nc_u32_e32 v8, 0, v8
	s_delay_alu instid0(VALU_DEP_1)
	v_add3_u32 v8, v8, v9, -4
	ds_store_b32 v8, v6
	s_or_b32 exec_lo, exec_lo, s9
	s_and_saveexec_b32 s7, vcc_lo
	s_cbranch_execz .LBB33_26
.LBB33_44:                              ;   in Loop: Header=BB33_27 Depth=1
	ds_store_b32 v1, v7 offset:4124
	s_branch .LBB33_26
.LBB33_45:                              ;   in Loop: Header=BB33_46 Depth=1
	s_or_b32 exec_lo, exec_lo, s4
	v_add_nc_u64_e32 v[2:3], 0x200, v[2:3]
	s_delay_alu instid0(VALU_DEP_1) | instskip(SKIP_1) | instid1(SALU_CYCLE_1)
	v_cmp_le_i64_e32 vcc_lo, s[2:3], v[2:3]
	s_or_b32 s1, vcc_lo, s1
	s_and_not1_b32 exec_lo, exec_lo, s1
	s_cbranch_execz .LBB33_24
.LBB33_46:                              ; =>This Loop Header: Depth=1
                                        ;     Child Loop BB33_49 Depth 2
	v_lshl_add_u64 v[4:5], v[2:3], 2, s[10:11]
	s_mov_b32 s4, 0
                                        ; implicit-def: $sgpr5
	global_load_b32 v1, v[4:5], off
	s_wait_loadcnt 0x0
	v_subrev_nc_u32_e32 v1, s27, v1
	s_delay_alu instid0(VALU_DEP_1) | instskip(NEXT) | instid1(VALU_DEP_1)
	v_mul_lo_u32 v4, 0x89, v1
	v_and_b32_e32 v4, 0x3ff, v4
	s_branch .LBB33_49
.LBB33_47:                              ;   in Loop: Header=BB33_49 Depth=2
	s_or_b32 exec_lo, exec_lo, s7
	s_delay_alu instid0(SALU_CYCLE_1) | instskip(SKIP_1) | instid1(SALU_CYCLE_1)
	s_and_not1_b32 s5, s5, exec_lo
	s_and_b32 s7, s8, exec_lo
	s_or_b32 s5, s5, s7
.LBB33_48:                              ;   in Loop: Header=BB33_49 Depth=2
	s_or_b32 exec_lo, exec_lo, s6
	s_xor_b32 s6, s5, -1
	s_delay_alu instid0(SALU_CYCLE_1) | instskip(NEXT) | instid1(SALU_CYCLE_1)
	s_and_b32 s6, exec_lo, s6
	s_or_b32 s4, s6, s4
	s_delay_alu instid0(SALU_CYCLE_1)
	s_and_not1_b32 exec_lo, exec_lo, s4
	s_cbranch_execz .LBB33_45
.LBB33_49:                              ;   Parent Loop BB33_46 Depth=1
                                        ; =>  This Inner Loop Header: Depth=2
	s_delay_alu instid0(VALU_DEP_1)
	v_lshl_add_u32 v5, v4, 2, 0
	s_and_not1_b32 s5, s5, exec_lo
	s_mov_b32 s6, exec_lo
	ds_load_b32 v6, v5
	s_wait_dscnt 0x0
	v_cmpx_ne_u32_e64 v6, v1
	s_cbranch_execz .LBB33_48
; %bb.50:                               ;   in Loop: Header=BB33_49 Depth=2
	s_mov_b32 s7, exec_lo
	v_cmpx_ne_u32_e64 s28, v6
	s_xor_b32 s7, exec_lo, s7
; %bb.51:                               ;   in Loop: Header=BB33_49 Depth=2
	v_add_nc_u32_e32 v4, 1, v4
                                        ; implicit-def: $vgpr5
	s_delay_alu instid0(VALU_DEP_1)
	v_and_b32_e32 v4, 0x3ff, v4
; %bb.52:                               ;   in Loop: Header=BB33_49 Depth=2
	s_or_saveexec_b32 s7, s7
	s_mov_b32 s8, -1
	s_xor_b32 exec_lo, exec_lo, s7
	s_cbranch_execz .LBB33_47
; %bb.53:                               ;   in Loop: Header=BB33_49 Depth=2
	v_mov_b32_e32 v6, s28
	ds_cmpstore_rtn_b32 v5, v5, v1, v6
	s_wait_dscnt 0x0
	v_cmp_ne_u32_e32 vcc_lo, s28, v5
	s_or_not1_b32 s8, vcc_lo, exec_lo
	s_branch .LBB33_47
.LBB33_54:
	s_or_b32 exec_lo, exec_lo, s8
	s_wait_kmcnt 0x0
	s_ashr_i32 s13, s12, 31
	s_delay_alu instid0(SALU_CYCLE_1) | instskip(NEXT) | instid1(SALU_CYCLE_1)
	s_lshl_b64 s[0:1], s[12:13], 3
	s_add_nc_u64 s[4:5], s[20:21], s[0:1]
	s_load_b128 s[0:3], s[4:5], 0x0
	s_wait_xcnt 0x0
	s_mov_b32 s4, exec_lo
	s_wait_kmcnt 0x0
	s_sub_co_i32 s3, s2, s0
	s_delay_alu instid0(SALU_CYCLE_1)
	v_cmpx_gt_i32_e64 s3, v0
	s_cbranch_execz .LBB33_64
; %bb.55:
	s_sub_co_i32 s4, s0, s2
	s_and_b32 s2, s3, 7
	s_cmp_lt_u32 s4, -7
	s_mov_b32 s27, 0
	s_cselect_b32 s4, -1, 0
	s_and_b32 s5, s3, -8
	s_cmp_lg_u32 s2, 0
	s_sub_nc_u64 s[0:1], s[0:1], s[26:27]
	s_cselect_b32 s6, -1, 0
	s_mov_b32 s7, 0
	s_branch .LBB33_57
.LBB33_56:                              ;   in Loop: Header=BB33_57 Depth=1
	v_add_nc_u32_e32 v0, 0x200, v0
	s_wait_dscnt 0x0
	v_add_nc_u32_e32 v1, s26, v1
	s_delay_alu instid0(VALU_DEP_3) | instskip(NEXT) | instid1(VALU_DEP_3)
	v_lshl_add_u64 v[2:3], v[2:3], 2, s[22:23]
	v_cmp_le_i32_e32 vcc_lo, s3, v0
	global_store_b32 v[2:3], v1, off
	s_or_b32 s7, vcc_lo, s7
	s_wait_xcnt 0x0
	s_and_not1_b32 exec_lo, exec_lo, s7
	s_cbranch_execz .LBB33_64
.LBB33_57:                              ; =>This Loop Header: Depth=1
                                        ;     Child Loop BB33_59 Depth 2
                                        ;     Child Loop BB33_63 Depth 2
	v_lshl_add_u32 v1, v0, 2, 0
	v_mov_b64_e32 v[2:3], s[0:1]
	s_and_not1_b32 vcc_lo, exec_lo, s4
	s_mov_b32 s8, 0
	ds_load_b32 v1, v1
	s_cbranch_vccnz .LBB33_61
; %bb.58:                               ;   in Loop: Header=BB33_57 Depth=1
	v_mov_b64_e32 v[2:3], s[0:1]
	s_mov_b32 s9, 0
.LBB33_59:                              ;   Parent Loop BB33_57 Depth=1
                                        ; =>  This Inner Loop Header: Depth=2
	s_delay_alu instid0(SALU_CYCLE_1)
	v_dual_mov_b32 v8, s9 :: v_dual_mov_b32 v9, s27
	v_mov_b32_e32 v15, s27
	s_add_co_i32 s8, s8, 8
	s_add_co_i32 s9, s9, 32
	ds_load_2addr_b32 v[4:5], v8 offset1:1
	ds_load_2addr_b32 v[6:7], v8 offset0:2 offset1:3
	ds_load_2addr_b32 v[10:11], v8 offset0:4 offset1:5
	ds_load_2addr_b32 v[12:13], v8 offset0:6 offset1:7
	s_cmp_eq_u32 s5, s8
	s_wait_dscnt 0x3
	v_cmp_gt_i32_e32 vcc_lo, v1, v4
	v_cndmask_b32_e64 v8, 0, 1, vcc_lo
	v_cmp_gt_i32_e32 vcc_lo, v1, v5
	v_mov_b32_e32 v5, s27
	s_delay_alu instid0(VALU_DEP_3) | instskip(SKIP_4) | instid1(VALU_DEP_3)
	v_add_nc_u64_e32 v[2:3], v[2:3], v[8:9]
	v_cndmask_b32_e64 v14, 0, 1, vcc_lo
	s_wait_dscnt 0x2
	v_cmp_gt_i32_e32 vcc_lo, v1, v6
	v_cndmask_b32_e64 v4, 0, 1, vcc_lo
	v_add_nc_u64_e32 v[2:3], v[2:3], v[14:15]
	v_cmp_gt_i32_e32 vcc_lo, v1, v7
	v_mov_b32_e32 v7, s27
	v_cndmask_b32_e64 v8, 0, 1, vcc_lo
	s_delay_alu instid0(VALU_DEP_4) | instskip(SKIP_3) | instid1(VALU_DEP_3)
	v_add_nc_u64_e32 v[2:3], v[2:3], v[4:5]
	s_wait_dscnt 0x1
	v_cmp_gt_i32_e32 vcc_lo, v1, v10
	v_cndmask_b32_e64 v4, 0, 1, vcc_lo
	v_add_nc_u64_e32 v[2:3], v[2:3], v[8:9]
	v_cmp_gt_i32_e32 vcc_lo, v1, v11
	v_cndmask_b32_e64 v6, 0, 1, vcc_lo
	s_delay_alu instid0(VALU_DEP_3) | instskip(SKIP_3) | instid1(VALU_DEP_3)
	v_add_nc_u64_e32 v[2:3], v[2:3], v[4:5]
	s_wait_dscnt 0x0
	v_cmp_gt_i32_e32 vcc_lo, v1, v12
	v_cndmask_b32_e64 v4, 0, 1, vcc_lo
	v_add_nc_u64_e32 v[2:3], v[2:3], v[6:7]
	v_cmp_gt_i32_e32 vcc_lo, v1, v13
	v_cndmask_b32_e64 v6, 0, 1, vcc_lo
	s_delay_alu instid0(VALU_DEP_3) | instskip(NEXT) | instid1(VALU_DEP_1)
	v_add_nc_u64_e32 v[2:3], v[2:3], v[4:5]
	v_add_nc_u64_e32 v[2:3], v[2:3], v[6:7]
	s_cbranch_scc0 .LBB33_59
; %bb.60:                               ;   in Loop: Header=BB33_57 Depth=1
	s_mov_b32 s8, s5
.LBB33_61:                              ;   in Loop: Header=BB33_57 Depth=1
	s_and_not1_b32 vcc_lo, exec_lo, s6
	s_cbranch_vccnz .LBB33_56
; %bb.62:                               ;   in Loop: Header=BB33_57 Depth=1
	s_lshl_b32 s8, s8, 2
	s_mov_b32 s9, s2
	s_add_co_i32 s8, s8, 0
.LBB33_63:                              ;   Parent Loop BB33_57 Depth=1
                                        ; =>  This Inner Loop Header: Depth=2
	s_delay_alu instid0(SALU_CYCLE_1)
	v_dual_mov_b32 v4, s8 :: v_dual_mov_b32 v5, s27
	s_add_co_i32 s9, s9, -1
	s_add_co_i32 s8, s8, 4
	s_cmp_lg_u32 s9, 0
	ds_load_b32 v4, v4
	s_wait_dscnt 0x0
	v_cmp_gt_i32_e32 vcc_lo, v1, v4
	v_cndmask_b32_e64 v4, 0, 1, vcc_lo
	s_delay_alu instid0(VALU_DEP_1)
	v_add_nc_u64_e32 v[2:3], v[2:3], v[4:5]
	s_cbranch_scc1 .LBB33_63
	s_branch .LBB33_56
.LBB33_64:
	s_endpgm
	.section	.rodata,"a",@progbits
	.p2align	6, 0x0
	.amdhsa_kernel _ZN9rocsparseL35csrgemm_symbolic_fill_block_per_rowILj512ELj32ELj1024ELj137ELj64EliEEvT5_PKS1_S3_PKT4_S3_S6_S3_S6_S3_S6_PS1_21rocsparse_index_base_S8_S8_S8_bb
		.amdhsa_group_segment_fixed_size 0
		.amdhsa_private_segment_fixed_size 0
		.amdhsa_kernarg_size 108
		.amdhsa_user_sgpr_count 2
		.amdhsa_user_sgpr_dispatch_ptr 0
		.amdhsa_user_sgpr_queue_ptr 0
		.amdhsa_user_sgpr_kernarg_segment_ptr 1
		.amdhsa_user_sgpr_dispatch_id 0
		.amdhsa_user_sgpr_kernarg_preload_length 0
		.amdhsa_user_sgpr_kernarg_preload_offset 0
		.amdhsa_user_sgpr_private_segment_size 0
		.amdhsa_wavefront_size32 1
		.amdhsa_uses_dynamic_stack 0
		.amdhsa_enable_private_segment 0
		.amdhsa_system_sgpr_workgroup_id_x 1
		.amdhsa_system_sgpr_workgroup_id_y 0
		.amdhsa_system_sgpr_workgroup_id_z 0
		.amdhsa_system_sgpr_workgroup_info 0
		.amdhsa_system_vgpr_workitem_id 0
		.amdhsa_next_free_vgpr 16
		.amdhsa_next_free_sgpr 40
		.amdhsa_named_barrier_count 0
		.amdhsa_reserve_vcc 1
		.amdhsa_float_round_mode_32 0
		.amdhsa_float_round_mode_16_64 0
		.amdhsa_float_denorm_mode_32 3
		.amdhsa_float_denorm_mode_16_64 3
		.amdhsa_fp16_overflow 0
		.amdhsa_memory_ordered 1
		.amdhsa_forward_progress 1
		.amdhsa_inst_pref_size 19
		.amdhsa_round_robin_scheduling 0
		.amdhsa_exception_fp_ieee_invalid_op 0
		.amdhsa_exception_fp_denorm_src 0
		.amdhsa_exception_fp_ieee_div_zero 0
		.amdhsa_exception_fp_ieee_overflow 0
		.amdhsa_exception_fp_ieee_underflow 0
		.amdhsa_exception_fp_ieee_inexact 0
		.amdhsa_exception_int_div_zero 0
	.end_amdhsa_kernel
	.section	.text._ZN9rocsparseL35csrgemm_symbolic_fill_block_per_rowILj512ELj32ELj1024ELj137ELj64EliEEvT5_PKS1_S3_PKT4_S3_S6_S3_S6_S3_S6_PS1_21rocsparse_index_base_S8_S8_S8_bb,"axG",@progbits,_ZN9rocsparseL35csrgemm_symbolic_fill_block_per_rowILj512ELj32ELj1024ELj137ELj64EliEEvT5_PKS1_S3_PKT4_S3_S6_S3_S6_S3_S6_PS1_21rocsparse_index_base_S8_S8_S8_bb,comdat
.Lfunc_end33:
	.size	_ZN9rocsparseL35csrgemm_symbolic_fill_block_per_rowILj512ELj32ELj1024ELj137ELj64EliEEvT5_PKS1_S3_PKT4_S3_S6_S3_S6_S3_S6_PS1_21rocsparse_index_base_S8_S8_S8_bb, .Lfunc_end33-_ZN9rocsparseL35csrgemm_symbolic_fill_block_per_rowILj512ELj32ELj1024ELj137ELj64EliEEvT5_PKS1_S3_PKT4_S3_S6_S3_S6_S3_S6_PS1_21rocsparse_index_base_S8_S8_S8_bb
                                        ; -- End function
	.set _ZN9rocsparseL35csrgemm_symbolic_fill_block_per_rowILj512ELj32ELj1024ELj137ELj64EliEEvT5_PKS1_S3_PKT4_S3_S6_S3_S6_S3_S6_PS1_21rocsparse_index_base_S8_S8_S8_bb.num_vgpr, 16
	.set _ZN9rocsparseL35csrgemm_symbolic_fill_block_per_rowILj512ELj32ELj1024ELj137ELj64EliEEvT5_PKS1_S3_PKT4_S3_S6_S3_S6_S3_S6_PS1_21rocsparse_index_base_S8_S8_S8_bb.num_agpr, 0
	.set _ZN9rocsparseL35csrgemm_symbolic_fill_block_per_rowILj512ELj32ELj1024ELj137ELj64EliEEvT5_PKS1_S3_PKT4_S3_S6_S3_S6_S3_S6_PS1_21rocsparse_index_base_S8_S8_S8_bb.numbered_sgpr, 40
	.set _ZN9rocsparseL35csrgemm_symbolic_fill_block_per_rowILj512ELj32ELj1024ELj137ELj64EliEEvT5_PKS1_S3_PKT4_S3_S6_S3_S6_S3_S6_PS1_21rocsparse_index_base_S8_S8_S8_bb.num_named_barrier, 0
	.set _ZN9rocsparseL35csrgemm_symbolic_fill_block_per_rowILj512ELj32ELj1024ELj137ELj64EliEEvT5_PKS1_S3_PKT4_S3_S6_S3_S6_S3_S6_PS1_21rocsparse_index_base_S8_S8_S8_bb.private_seg_size, 0
	.set _ZN9rocsparseL35csrgemm_symbolic_fill_block_per_rowILj512ELj32ELj1024ELj137ELj64EliEEvT5_PKS1_S3_PKT4_S3_S6_S3_S6_S3_S6_PS1_21rocsparse_index_base_S8_S8_S8_bb.uses_vcc, 1
	.set _ZN9rocsparseL35csrgemm_symbolic_fill_block_per_rowILj512ELj32ELj1024ELj137ELj64EliEEvT5_PKS1_S3_PKT4_S3_S6_S3_S6_S3_S6_PS1_21rocsparse_index_base_S8_S8_S8_bb.uses_flat_scratch, 0
	.set _ZN9rocsparseL35csrgemm_symbolic_fill_block_per_rowILj512ELj32ELj1024ELj137ELj64EliEEvT5_PKS1_S3_PKT4_S3_S6_S3_S6_S3_S6_PS1_21rocsparse_index_base_S8_S8_S8_bb.has_dyn_sized_stack, 0
	.set _ZN9rocsparseL35csrgemm_symbolic_fill_block_per_rowILj512ELj32ELj1024ELj137ELj64EliEEvT5_PKS1_S3_PKT4_S3_S6_S3_S6_S3_S6_PS1_21rocsparse_index_base_S8_S8_S8_bb.has_recursion, 0
	.set _ZN9rocsparseL35csrgemm_symbolic_fill_block_per_rowILj512ELj32ELj1024ELj137ELj64EliEEvT5_PKS1_S3_PKT4_S3_S6_S3_S6_S3_S6_PS1_21rocsparse_index_base_S8_S8_S8_bb.has_indirect_call, 0
	.section	.AMDGPU.csdata,"",@progbits
; Kernel info:
; codeLenInByte = 2404
; TotalNumSgprs: 42
; NumVgprs: 16
; ScratchSize: 0
; MemoryBound: 0
; FloatMode: 240
; IeeeMode: 1
; LDSByteSize: 0 bytes/workgroup (compile time only)
; SGPRBlocks: 0
; VGPRBlocks: 0
; NumSGPRsForWavesPerEU: 42
; NumVGPRsForWavesPerEU: 16
; NamedBarCnt: 0
; Occupancy: 16
; WaveLimiterHint : 1
; COMPUTE_PGM_RSRC2:SCRATCH_EN: 0
; COMPUTE_PGM_RSRC2:USER_SGPR: 2
; COMPUTE_PGM_RSRC2:TRAP_HANDLER: 0
; COMPUTE_PGM_RSRC2:TGID_X_EN: 1
; COMPUTE_PGM_RSRC2:TGID_Y_EN: 0
; COMPUTE_PGM_RSRC2:TGID_Z_EN: 0
; COMPUTE_PGM_RSRC2:TIDIG_COMP_CNT: 0
	.section	.text._ZN9rocsparseL35csrgemm_symbolic_fill_block_per_rowILj1024ELj32ELj2048ELj137ELj32EliEEvT5_PKS1_S3_PKT4_S3_S6_S3_S6_S3_S6_PS1_21rocsparse_index_base_S8_S8_S8_bb,"axG",@progbits,_ZN9rocsparseL35csrgemm_symbolic_fill_block_per_rowILj1024ELj32ELj2048ELj137ELj32EliEEvT5_PKS1_S3_PKT4_S3_S6_S3_S6_S3_S6_PS1_21rocsparse_index_base_S8_S8_S8_bb,comdat
	.globl	_ZN9rocsparseL35csrgemm_symbolic_fill_block_per_rowILj1024ELj32ELj2048ELj137ELj32EliEEvT5_PKS1_S3_PKT4_S3_S6_S3_S6_S3_S6_PS1_21rocsparse_index_base_S8_S8_S8_bb ; -- Begin function _ZN9rocsparseL35csrgemm_symbolic_fill_block_per_rowILj1024ELj32ELj2048ELj137ELj32EliEEvT5_PKS1_S3_PKT4_S3_S6_S3_S6_S3_S6_PS1_21rocsparse_index_base_S8_S8_S8_bb
	.p2align	8
	.type	_ZN9rocsparseL35csrgemm_symbolic_fill_block_per_rowILj1024ELj32ELj2048ELj137ELj32EliEEvT5_PKS1_S3_PKT4_S3_S6_S3_S6_S3_S6_PS1_21rocsparse_index_base_S8_S8_S8_bb,@function
_ZN9rocsparseL35csrgemm_symbolic_fill_block_per_rowILj1024ELj32ELj2048ELj137ELj32EliEEvT5_PKS1_S3_PKT4_S3_S6_S3_S6_S3_S6_PS1_21rocsparse_index_base_S8_S8_S8_bb: ; @_ZN9rocsparseL35csrgemm_symbolic_fill_block_per_rowILj1024ELj32ELj2048ELj137ELj32EliEEvT5_PKS1_S3_PKT4_S3_S6_S3_S6_S3_S6_PS1_21rocsparse_index_base_S8_S8_S8_bb
; %bb.0:
	s_clause 0x1
	s_load_b32 s33, s[0:1], 0x0
	s_load_b128 s[4:7], s[0:1], 0x8
	v_lshl_add_u32 v12, v0, 2, 0
	s_bfe_u32 s3, ttmp6, 0x4000c
	s_load_b32 s12, s[0:1], 0x68
	s_add_co_i32 s3, s3, 1
	s_delay_alu instid0(SALU_CYCLE_1)
	s_mul_i32 s3, ttmp9, s3
	s_wait_kmcnt 0x0
	v_dual_mov_b32 v1, s33 :: v_dual_mov_b32 v2, s33
	ds_store_2addr_stride64_b32 v12, v1, v2 offset1:16
	s_wait_dscnt 0x0
	s_barrier_signal -1
	s_barrier_wait -1
	s_load_b32 s2, s[4:5], 0x0
	s_wait_xcnt 0x0
	s_and_b32 s4, ttmp6, 15
	s_getreg_b32 s5, hwreg(HW_REG_IB_STS2, 6, 4)
	s_add_co_i32 s4, s4, s3
	s_cmp_eq_u32 s5, 0
	v_lshrrev_b32_e32 v2, 5, v0
	s_cselect_b32 s3, ttmp9, s4
	s_wait_kmcnt 0x0
	s_add_co_i32 s2, s2, s3
	s_load_b128 s[36:39], s[0:1], 0x58
	s_load_b32 s34, s[6:7], s2 offset:0x0 scale_offset
	s_bitcmp0_b32 s12, 0
	s_mov_b32 s3, 0
	s_cbranch_scc1 .LBB34_16
; %bb.1:
	s_load_b64 s[4:5], s[0:1], 0x18
	s_wait_kmcnt 0x0
	s_ashr_i32 s35, s34, 31
	v_mov_b32_e32 v3, 0
	s_lshl_b64 s[6:7], s[34:35], 3
	s_mov_b32 s2, s36
	s_mov_b32 s13, exec_lo
	s_delay_alu instid0(VALU_DEP_1) | instskip(SKIP_3) | instid1(VALU_DEP_1)
	v_sub_nc_u64_e64 v[4:5], v[2:3], s[2:3]
	s_add_nc_u64 s[8:9], s[4:5], s[6:7]
	s_load_b128 s[4:7], s[8:9], 0x0
	s_wait_kmcnt 0x0
	v_add_nc_u64_e32 v[4:5], s[4:5], v[4:5]
	s_sub_nc_u64 s[2:3], s[6:7], s[2:3]
	s_delay_alu instid0(VALU_DEP_1) | instid1(SALU_CYCLE_1)
	v_cmpx_gt_i64_e64 s[2:3], v[4:5]
	s_cbranch_execz .LBB34_15
; %bb.2:
	s_clause 0x1
	s_load_b128 s[4:7], s[0:1], 0x20
	s_load_b64 s[8:9], s[0:1], 0x30
	v_dual_mov_b32 v7, v3 :: v_dual_bitop2_b32 v6, 31, v0 bitop3:0x40
	s_mov_b32 s11, 0
	s_mov_b32 s10, s37
	;; [unrolled: 1-line block ×3, first 2 shown]
	s_delay_alu instid0(VALU_DEP_1)
	v_sub_nc_u64_e64 v[6:7], v[6:7], s[10:11]
	s_branch .LBB34_4
.LBB34_3:                               ;   in Loop: Header=BB34_4 Depth=1
	s_or_b32 exec_lo, exec_lo, s15
	v_add_nc_u64_e32 v[4:5], 32, v[4:5]
	s_delay_alu instid0(VALU_DEP_1) | instskip(SKIP_1) | instid1(SALU_CYCLE_1)
	v_cmp_le_i64_e32 vcc_lo, s[2:3], v[4:5]
	s_or_b32 s14, vcc_lo, s14
	s_and_not1_b32 exec_lo, exec_lo, s14
	s_cbranch_execz .LBB34_15
.LBB34_4:                               ; =>This Loop Header: Depth=1
                                        ;     Child Loop BB34_7 Depth 2
                                        ;       Child Loop BB34_10 Depth 3
	s_wait_kmcnt 0x0
	v_lshl_add_u64 v[8:9], v[4:5], 2, s[4:5]
	s_mov_b32 s15, exec_lo
	global_load_b32 v1, v[8:9], off
	s_wait_loadcnt 0x0
	v_subrev_nc_u32_e32 v8, s36, v1
	s_delay_alu instid0(VALU_DEP_1) | instskip(NEXT) | instid1(VALU_DEP_1)
	v_ashrrev_i32_e32 v9, 31, v8
	v_lshl_add_u64 v[8:9], v[8:9], 3, s[6:7]
	global_load_b128 v[14:17], v[8:9], off
	s_wait_loadcnt 0x0
	v_sub_nc_u64_e64 v[8:9], v[16:17], s[10:11]
	v_add_nc_u64_e32 v[10:11], v[14:15], v[6:7]
	s_delay_alu instid0(VALU_DEP_1)
	v_cmpx_lt_i64_e64 v[10:11], v[8:9]
	s_cbranch_execz .LBB34_3
; %bb.5:                                ;   in Loop: Header=BB34_4 Depth=1
	s_mov_b32 s16, 0
	s_branch .LBB34_7
.LBB34_6:                               ;   in Loop: Header=BB34_7 Depth=2
	s_or_b32 exec_lo, exec_lo, s17
	v_add_nc_u64_e32 v[10:11], 32, v[10:11]
	s_delay_alu instid0(VALU_DEP_1) | instskip(SKIP_1) | instid1(SALU_CYCLE_1)
	v_cmp_ge_i64_e32 vcc_lo, v[10:11], v[8:9]
	s_or_b32 s16, vcc_lo, s16
	s_and_not1_b32 exec_lo, exec_lo, s16
	s_cbranch_execz .LBB34_3
.LBB34_7:                               ;   Parent Loop BB34_4 Depth=1
                                        ; =>  This Loop Header: Depth=2
                                        ;       Child Loop BB34_10 Depth 3
	v_lshl_add_u64 v[14:15], v[10:11], 2, s[8:9]
	s_mov_b32 s17, 0
                                        ; implicit-def: $sgpr18
	global_load_b32 v1, v[14:15], off
	s_wait_loadcnt 0x0
	v_subrev_nc_u32_e32 v1, s37, v1
	s_delay_alu instid0(VALU_DEP_1) | instskip(NEXT) | instid1(VALU_DEP_1)
	v_mul_lo_u32 v3, 0x89, v1
	v_and_b32_e32 v3, 0x7ff, v3
	s_branch .LBB34_10
.LBB34_8:                               ;   in Loop: Header=BB34_10 Depth=3
	s_or_b32 exec_lo, exec_lo, s20
	s_delay_alu instid0(SALU_CYCLE_1) | instskip(SKIP_1) | instid1(SALU_CYCLE_1)
	s_and_not1_b32 s18, s18, exec_lo
	s_and_b32 s20, s21, exec_lo
	s_or_b32 s18, s18, s20
.LBB34_9:                               ;   in Loop: Header=BB34_10 Depth=3
	s_or_b32 exec_lo, exec_lo, s19
	s_xor_b32 s19, s18, -1
	s_delay_alu instid0(SALU_CYCLE_1) | instskip(NEXT) | instid1(SALU_CYCLE_1)
	s_and_b32 s19, exec_lo, s19
	s_or_b32 s17, s19, s17
	s_delay_alu instid0(SALU_CYCLE_1)
	s_and_not1_b32 exec_lo, exec_lo, s17
	s_cbranch_execz .LBB34_6
.LBB34_10:                              ;   Parent Loop BB34_4 Depth=1
                                        ;     Parent Loop BB34_7 Depth=2
                                        ; =>    This Inner Loop Header: Depth=3
	s_delay_alu instid0(VALU_DEP_1)
	v_lshl_add_u32 v13, v3, 2, 0
	s_and_not1_b32 s18, s18, exec_lo
	s_mov_b32 s19, exec_lo
	ds_load_b32 v14, v13
	s_wait_dscnt 0x0
	v_cmpx_ne_u32_e64 v14, v1
	s_cbranch_execz .LBB34_9
; %bb.11:                               ;   in Loop: Header=BB34_10 Depth=3
	s_mov_b32 s20, exec_lo
	v_cmpx_ne_u32_e64 s33, v14
	s_xor_b32 s20, exec_lo, s20
; %bb.12:                               ;   in Loop: Header=BB34_10 Depth=3
	v_add_nc_u32_e32 v3, 1, v3
                                        ; implicit-def: $vgpr13
	s_delay_alu instid0(VALU_DEP_1)
	v_and_b32_e32 v3, 0x7ff, v3
; %bb.13:                               ;   in Loop: Header=BB34_10 Depth=3
	s_or_saveexec_b32 s20, s20
	s_mov_b32 s21, -1
	s_xor_b32 exec_lo, exec_lo, s20
	s_cbranch_execz .LBB34_8
; %bb.14:                               ;   in Loop: Header=BB34_10 Depth=3
	v_mov_b32_e32 v14, s33
	ds_cmpstore_rtn_b32 v13, v13, v1, v14
	s_wait_dscnt 0x0
	v_cmp_ne_u32_e32 vcc_lo, s33, v13
	s_or_not1_b32 s21, vcc_lo, exec_lo
	s_branch .LBB34_8
.LBB34_15:
	s_or_b32 exec_lo, exec_lo, s13
.LBB34_16:
	s_wait_xcnt 0x0
	s_bfe_u32 s2, s12, 0x10008
	s_delay_alu instid0(SALU_CYCLE_1)
	s_cmp_eq_u32 s2, 0
	s_cbranch_scc1 .LBB34_29
; %bb.17:
	s_load_b64 s[2:3], s[0:1], 0x38
	s_wait_kmcnt 0x0
	s_ashr_i32 s35, s34, 31
	v_mov_b32_e32 v1, 0
	s_lshl_b64 s[4:5], s[34:35], 3
	s_delay_alu instid0(SALU_CYCLE_1) | instskip(SKIP_4) | instid1(SALU_CYCLE_1)
	s_add_nc_u64 s[2:3], s[2:3], s[4:5]
	s_load_b128 s[4:7], s[2:3], 0x0
	s_wait_xcnt 0x0
	s_mov_b32 s3, 0
	s_mov_b32 s2, s39
	v_sub_nc_u64_e64 v[4:5], v[0:1], s[2:3]
	s_wait_kmcnt 0x0
	s_delay_alu instid0(VALU_DEP_1) | instskip(SKIP_2) | instid1(VALU_DEP_1)
	v_add_nc_u64_e32 v[4:5], s[4:5], v[4:5]
	s_sub_nc_u64 s[4:5], s[6:7], s[2:3]
	s_mov_b32 s2, exec_lo
	v_cmpx_gt_i64_e64 s[4:5], v[4:5]
	s_cbranch_execz .LBB34_28
; %bb.18:
	s_load_b64 s[6:7], s[0:1], 0x40
	s_branch .LBB34_20
.LBB34_19:                              ;   in Loop: Header=BB34_20 Depth=1
	s_or_b32 exec_lo, exec_lo, s8
	v_add_nc_u64_e32 v[4:5], 0x400, v[4:5]
	s_delay_alu instid0(VALU_DEP_1) | instskip(SKIP_1) | instid1(SALU_CYCLE_1)
	v_cmp_le_i64_e32 vcc_lo, s[4:5], v[4:5]
	s_or_b32 s3, vcc_lo, s3
	s_and_not1_b32 exec_lo, exec_lo, s3
	s_cbranch_execz .LBB34_28
.LBB34_20:                              ; =>This Loop Header: Depth=1
                                        ;     Child Loop BB34_23 Depth 2
	s_wait_kmcnt 0x0
	v_lshl_add_u64 v[6:7], v[4:5], 2, s[6:7]
	s_mov_b32 s8, 0
                                        ; implicit-def: $sgpr9
	global_load_b32 v1, v[6:7], off
	s_wait_loadcnt 0x0
	v_subrev_nc_u32_e32 v1, s39, v1
	s_delay_alu instid0(VALU_DEP_1) | instskip(NEXT) | instid1(VALU_DEP_1)
	v_mul_lo_u32 v3, 0x89, v1
	v_and_b32_e32 v3, 0x7ff, v3
	s_branch .LBB34_23
.LBB34_21:                              ;   in Loop: Header=BB34_23 Depth=2
	s_or_b32 exec_lo, exec_lo, s11
	s_delay_alu instid0(SALU_CYCLE_1) | instskip(SKIP_1) | instid1(SALU_CYCLE_1)
	s_and_not1_b32 s9, s9, exec_lo
	s_and_b32 s11, s12, exec_lo
	s_or_b32 s9, s9, s11
.LBB34_22:                              ;   in Loop: Header=BB34_23 Depth=2
	s_or_b32 exec_lo, exec_lo, s10
	s_xor_b32 s10, s9, -1
	s_delay_alu instid0(SALU_CYCLE_1) | instskip(NEXT) | instid1(SALU_CYCLE_1)
	s_and_b32 s10, exec_lo, s10
	s_or_b32 s8, s10, s8
	s_delay_alu instid0(SALU_CYCLE_1)
	s_and_not1_b32 exec_lo, exec_lo, s8
	s_cbranch_execz .LBB34_19
.LBB34_23:                              ;   Parent Loop BB34_20 Depth=1
                                        ; =>  This Inner Loop Header: Depth=2
	s_delay_alu instid0(VALU_DEP_1)
	v_lshl_add_u32 v6, v3, 2, 0
	s_and_not1_b32 s9, s9, exec_lo
	s_mov_b32 s10, exec_lo
	ds_load_b32 v7, v6
	s_wait_dscnt 0x0
	v_cmpx_ne_u32_e64 v7, v1
	s_cbranch_execz .LBB34_22
; %bb.24:                               ;   in Loop: Header=BB34_23 Depth=2
	s_mov_b32 s11, exec_lo
	v_cmpx_ne_u32_e64 s33, v7
	s_xor_b32 s11, exec_lo, s11
; %bb.25:                               ;   in Loop: Header=BB34_23 Depth=2
	v_add_nc_u32_e32 v3, 1, v3
                                        ; implicit-def: $vgpr6
	s_delay_alu instid0(VALU_DEP_1)
	v_and_b32_e32 v3, 0x7ff, v3
; %bb.26:                               ;   in Loop: Header=BB34_23 Depth=2
	s_or_saveexec_b32 s11, s11
	s_mov_b32 s12, -1
	s_xor_b32 exec_lo, exec_lo, s11
	s_cbranch_execz .LBB34_21
; %bb.27:                               ;   in Loop: Header=BB34_23 Depth=2
	v_mov_b32_e32 v7, s33
	ds_cmpstore_rtn_b32 v6, v6, v1, v7
	s_wait_dscnt 0x0
	v_cmp_ne_u32_e32 vcc_lo, s33, v6
	s_or_not1_b32 s12, vcc_lo, exec_lo
	s_branch .LBB34_21
.LBB34_28:
	s_or_b32 exec_lo, exec_lo, s2
.LBB34_29:
	s_load_b128 s[40:43], s[0:1], 0x48
	v_mbcnt_lo_u32_b32 v4, -1, 0
	v_mov_b32_e32 v1, 0
	v_lshl_add_u32 v3, v2, 2, 0
	s_wait_xcnt 0x0
	v_cmp_lt_u32_e64 s0, 31, v0
	v_cmp_lt_u32_e64 s1, 63, v0
	v_xor_b32_e32 v2, 31, v4
	v_cmp_lt_u32_e64 s2, 0x5f, v0
	v_cmp_lt_u32_e64 s3, 0x7f, v0
	;; [unrolled: 1-line block ×4, first 2 shown]
	v_lshrrev_b32_e64 v2, v2, -1
	v_cmp_lt_u32_e64 s6, 0xdf, v0
	v_cmp_lt_u32_e64 s7, 0xff, v0
	;; [unrolled: 1-line block ×25, first 2 shown]
	v_or_b32_e32 v4, 0xfffffc00, v0
	v_mov_b32_e32 v5, 0
	s_mov_b32 s35, 0
	v_cmp_eq_u32_e32 vcc_lo, 0x3ff, v0
	s_barrier_signal -1
	s_barrier_wait -1
	s_branch .LBB34_31
.LBB34_30:                              ;   in Loop: Header=BB34_31 Depth=1
	s_or_b32 exec_lo, exec_lo, s31
	s_wait_dscnt 0x0
	s_barrier_signal -1
	s_barrier_wait -1
	ds_load_b32 v6, v1 offset:8316
	v_add_co_u32 v4, s31, 0x400, v4
	s_xor_b32 s31, s31, -1
	v_add_nc_u32_e32 v12, 0x1000, v12
	s_and_b32 s31, exec_lo, s31
	s_delay_alu instid0(SALU_CYCLE_1)
	s_or_b32 s35, s31, s35
	s_wait_dscnt 0x0
	v_add_nc_u32_e32 v5, v6, v5
	s_and_not1_b32 exec_lo, exec_lo, s35
	s_cbranch_execz .LBB34_97
.LBB34_31:                              ; =>This Inner Loop Header: Depth=1
	ds_load_b32 v6, v12
	s_wait_dscnt 0x0
	s_barrier_signal -1
	s_barrier_wait -1
	v_cmp_gt_i32_e64 s31, s33, v6
	s_wait_kmcnt 0x0
	s_bcnt1_i32_b32 s36, s31
	s_delay_alu instid0(SALU_CYCLE_1) | instskip(NEXT) | instid1(VALU_DEP_1)
	v_dual_mov_b32 v8, s36 :: v_dual_bitop2_b32 v7, s31, v2 bitop3:0x40
	v_bcnt_u32_b32 v7, v7, 0
	ds_store_b32 v3, v8 offset:8192
	s_wait_dscnt 0x0
	s_barrier_signal -1
	s_barrier_wait -1
	s_and_saveexec_b32 s36, s0
	s_cbranch_execnz .LBB34_64
; %bb.32:                               ;   in Loop: Header=BB34_31 Depth=1
	s_or_b32 exec_lo, exec_lo, s36
	s_and_saveexec_b32 s36, s1
	s_cbranch_execnz .LBB34_65
.LBB34_33:                              ;   in Loop: Header=BB34_31 Depth=1
	s_or_b32 exec_lo, exec_lo, s36
	s_and_saveexec_b32 s36, s2
	s_cbranch_execnz .LBB34_66
.LBB34_34:                              ;   in Loop: Header=BB34_31 Depth=1
	s_or_b32 exec_lo, exec_lo, s36
	s_and_saveexec_b32 s36, s3
	s_cbranch_execnz .LBB34_67
.LBB34_35:                              ;   in Loop: Header=BB34_31 Depth=1
	s_or_b32 exec_lo, exec_lo, s36
	s_and_saveexec_b32 s36, s4
	s_cbranch_execnz .LBB34_68
.LBB34_36:                              ;   in Loop: Header=BB34_31 Depth=1
	s_or_b32 exec_lo, exec_lo, s36
	s_and_saveexec_b32 s36, s5
	s_cbranch_execnz .LBB34_69
.LBB34_37:                              ;   in Loop: Header=BB34_31 Depth=1
	s_or_b32 exec_lo, exec_lo, s36
	s_and_saveexec_b32 s36, s6
	s_cbranch_execnz .LBB34_70
.LBB34_38:                              ;   in Loop: Header=BB34_31 Depth=1
	s_or_b32 exec_lo, exec_lo, s36
	s_and_saveexec_b32 s36, s7
	s_cbranch_execnz .LBB34_71
.LBB34_39:                              ;   in Loop: Header=BB34_31 Depth=1
	s_or_b32 exec_lo, exec_lo, s36
	s_and_saveexec_b32 s36, s8
	s_cbranch_execnz .LBB34_72
.LBB34_40:                              ;   in Loop: Header=BB34_31 Depth=1
	s_or_b32 exec_lo, exec_lo, s36
	s_and_saveexec_b32 s36, s9
	s_cbranch_execnz .LBB34_73
.LBB34_41:                              ;   in Loop: Header=BB34_31 Depth=1
	s_or_b32 exec_lo, exec_lo, s36
	s_and_saveexec_b32 s36, s10
	s_cbranch_execnz .LBB34_74
.LBB34_42:                              ;   in Loop: Header=BB34_31 Depth=1
	s_or_b32 exec_lo, exec_lo, s36
	s_and_saveexec_b32 s36, s11
	s_cbranch_execnz .LBB34_75
.LBB34_43:                              ;   in Loop: Header=BB34_31 Depth=1
	s_or_b32 exec_lo, exec_lo, s36
	s_and_saveexec_b32 s36, s12
	s_cbranch_execnz .LBB34_76
.LBB34_44:                              ;   in Loop: Header=BB34_31 Depth=1
	s_or_b32 exec_lo, exec_lo, s36
	s_and_saveexec_b32 s36, s13
	s_cbranch_execnz .LBB34_77
.LBB34_45:                              ;   in Loop: Header=BB34_31 Depth=1
	s_or_b32 exec_lo, exec_lo, s36
	s_and_saveexec_b32 s36, s14
	s_cbranch_execnz .LBB34_78
.LBB34_46:                              ;   in Loop: Header=BB34_31 Depth=1
	s_or_b32 exec_lo, exec_lo, s36
	s_and_saveexec_b32 s36, s15
	s_cbranch_execnz .LBB34_79
.LBB34_47:                              ;   in Loop: Header=BB34_31 Depth=1
	s_or_b32 exec_lo, exec_lo, s36
	s_and_saveexec_b32 s36, s16
	s_cbranch_execnz .LBB34_80
.LBB34_48:                              ;   in Loop: Header=BB34_31 Depth=1
	s_or_b32 exec_lo, exec_lo, s36
	s_and_saveexec_b32 s36, s17
	s_cbranch_execnz .LBB34_81
.LBB34_49:                              ;   in Loop: Header=BB34_31 Depth=1
	s_or_b32 exec_lo, exec_lo, s36
	s_and_saveexec_b32 s36, s18
	s_cbranch_execnz .LBB34_82
.LBB34_50:                              ;   in Loop: Header=BB34_31 Depth=1
	s_or_b32 exec_lo, exec_lo, s36
	s_and_saveexec_b32 s36, s19
	s_cbranch_execnz .LBB34_83
.LBB34_51:                              ;   in Loop: Header=BB34_31 Depth=1
	s_or_b32 exec_lo, exec_lo, s36
	s_and_saveexec_b32 s36, s20
	s_cbranch_execnz .LBB34_84
.LBB34_52:                              ;   in Loop: Header=BB34_31 Depth=1
	s_or_b32 exec_lo, exec_lo, s36
	s_and_saveexec_b32 s36, s21
	s_cbranch_execnz .LBB34_85
.LBB34_53:                              ;   in Loop: Header=BB34_31 Depth=1
	s_or_b32 exec_lo, exec_lo, s36
	s_and_saveexec_b32 s36, s22
	s_cbranch_execnz .LBB34_86
.LBB34_54:                              ;   in Loop: Header=BB34_31 Depth=1
	s_or_b32 exec_lo, exec_lo, s36
	s_and_saveexec_b32 s36, s23
	s_cbranch_execnz .LBB34_87
.LBB34_55:                              ;   in Loop: Header=BB34_31 Depth=1
	s_or_b32 exec_lo, exec_lo, s36
	s_and_saveexec_b32 s36, s24
	s_cbranch_execnz .LBB34_88
.LBB34_56:                              ;   in Loop: Header=BB34_31 Depth=1
	s_or_b32 exec_lo, exec_lo, s36
	s_and_saveexec_b32 s36, s25
	s_cbranch_execnz .LBB34_89
.LBB34_57:                              ;   in Loop: Header=BB34_31 Depth=1
	s_or_b32 exec_lo, exec_lo, s36
	s_and_saveexec_b32 s36, s26
	s_cbranch_execnz .LBB34_90
.LBB34_58:                              ;   in Loop: Header=BB34_31 Depth=1
	s_or_b32 exec_lo, exec_lo, s36
	s_and_saveexec_b32 s36, s27
	s_cbranch_execnz .LBB34_91
.LBB34_59:                              ;   in Loop: Header=BB34_31 Depth=1
	s_or_b32 exec_lo, exec_lo, s36
	s_and_saveexec_b32 s36, s28
	s_cbranch_execnz .LBB34_92
.LBB34_60:                              ;   in Loop: Header=BB34_31 Depth=1
	s_or_b32 exec_lo, exec_lo, s36
	s_and_saveexec_b32 s36, s29
	s_cbranch_execnz .LBB34_93
.LBB34_61:                              ;   in Loop: Header=BB34_31 Depth=1
	s_or_b32 exec_lo, exec_lo, s36
	s_and_saveexec_b32 s36, s30
	s_cbranch_execnz .LBB34_94
.LBB34_62:                              ;   in Loop: Header=BB34_31 Depth=1
	s_or_b32 exec_lo, exec_lo, s36
	s_and_saveexec_b32 s36, s31
	s_cbranch_execnz .LBB34_95
.LBB34_63:                              ;   in Loop: Header=BB34_31 Depth=1
	s_or_b32 exec_lo, exec_lo, s36
	s_and_saveexec_b32 s31, vcc_lo
	s_cbranch_execz .LBB34_30
	s_branch .LBB34_96
.LBB34_64:                              ;   in Loop: Header=BB34_31 Depth=1
	ds_load_b32 v8, v1 offset:8192
	s_wait_dscnt 0x0
	v_add_nc_u32_e32 v7, v8, v7
	s_or_b32 exec_lo, exec_lo, s36
	s_and_saveexec_b32 s36, s1
	s_cbranch_execz .LBB34_33
.LBB34_65:                              ;   in Loop: Header=BB34_31 Depth=1
	ds_load_b32 v8, v1 offset:8196
	s_wait_dscnt 0x0
	v_add_nc_u32_e32 v7, v8, v7
	s_or_b32 exec_lo, exec_lo, s36
	s_and_saveexec_b32 s36, s2
	s_cbranch_execz .LBB34_34
.LBB34_66:                              ;   in Loop: Header=BB34_31 Depth=1
	ds_load_b32 v8, v1 offset:8200
	s_wait_dscnt 0x0
	v_add_nc_u32_e32 v7, v8, v7
	s_or_b32 exec_lo, exec_lo, s36
	s_and_saveexec_b32 s36, s3
	s_cbranch_execz .LBB34_35
.LBB34_67:                              ;   in Loop: Header=BB34_31 Depth=1
	ds_load_b32 v8, v1 offset:8204
	s_wait_dscnt 0x0
	v_add_nc_u32_e32 v7, v8, v7
	s_or_b32 exec_lo, exec_lo, s36
	s_and_saveexec_b32 s36, s4
	s_cbranch_execz .LBB34_36
.LBB34_68:                              ;   in Loop: Header=BB34_31 Depth=1
	ds_load_b32 v8, v1 offset:8208
	s_wait_dscnt 0x0
	v_add_nc_u32_e32 v7, v8, v7
	s_or_b32 exec_lo, exec_lo, s36
	s_and_saveexec_b32 s36, s5
	s_cbranch_execz .LBB34_37
.LBB34_69:                              ;   in Loop: Header=BB34_31 Depth=1
	ds_load_b32 v8, v1 offset:8212
	s_wait_dscnt 0x0
	v_add_nc_u32_e32 v7, v8, v7
	s_or_b32 exec_lo, exec_lo, s36
	s_and_saveexec_b32 s36, s6
	s_cbranch_execz .LBB34_38
.LBB34_70:                              ;   in Loop: Header=BB34_31 Depth=1
	ds_load_b32 v8, v1 offset:8216
	s_wait_dscnt 0x0
	v_add_nc_u32_e32 v7, v8, v7
	s_or_b32 exec_lo, exec_lo, s36
	s_and_saveexec_b32 s36, s7
	s_cbranch_execz .LBB34_39
.LBB34_71:                              ;   in Loop: Header=BB34_31 Depth=1
	ds_load_b32 v8, v1 offset:8220
	s_wait_dscnt 0x0
	v_add_nc_u32_e32 v7, v8, v7
	s_or_b32 exec_lo, exec_lo, s36
	s_and_saveexec_b32 s36, s8
	s_cbranch_execz .LBB34_40
.LBB34_72:                              ;   in Loop: Header=BB34_31 Depth=1
	ds_load_b32 v8, v1 offset:8224
	s_wait_dscnt 0x0
	v_add_nc_u32_e32 v7, v8, v7
	s_or_b32 exec_lo, exec_lo, s36
	s_and_saveexec_b32 s36, s9
	s_cbranch_execz .LBB34_41
.LBB34_73:                              ;   in Loop: Header=BB34_31 Depth=1
	ds_load_b32 v8, v1 offset:8228
	s_wait_dscnt 0x0
	v_add_nc_u32_e32 v7, v8, v7
	s_or_b32 exec_lo, exec_lo, s36
	s_and_saveexec_b32 s36, s10
	s_cbranch_execz .LBB34_42
.LBB34_74:                              ;   in Loop: Header=BB34_31 Depth=1
	ds_load_b32 v8, v1 offset:8232
	s_wait_dscnt 0x0
	v_add_nc_u32_e32 v7, v8, v7
	s_or_b32 exec_lo, exec_lo, s36
	s_and_saveexec_b32 s36, s11
	s_cbranch_execz .LBB34_43
.LBB34_75:                              ;   in Loop: Header=BB34_31 Depth=1
	ds_load_b32 v8, v1 offset:8236
	s_wait_dscnt 0x0
	v_add_nc_u32_e32 v7, v8, v7
	s_or_b32 exec_lo, exec_lo, s36
	s_and_saveexec_b32 s36, s12
	s_cbranch_execz .LBB34_44
.LBB34_76:                              ;   in Loop: Header=BB34_31 Depth=1
	ds_load_b32 v8, v1 offset:8240
	s_wait_dscnt 0x0
	v_add_nc_u32_e32 v7, v8, v7
	s_or_b32 exec_lo, exec_lo, s36
	s_and_saveexec_b32 s36, s13
	s_cbranch_execz .LBB34_45
.LBB34_77:                              ;   in Loop: Header=BB34_31 Depth=1
	ds_load_b32 v8, v1 offset:8244
	s_wait_dscnt 0x0
	v_add_nc_u32_e32 v7, v8, v7
	s_or_b32 exec_lo, exec_lo, s36
	s_and_saveexec_b32 s36, s14
	s_cbranch_execz .LBB34_46
.LBB34_78:                              ;   in Loop: Header=BB34_31 Depth=1
	ds_load_b32 v8, v1 offset:8248
	s_wait_dscnt 0x0
	v_add_nc_u32_e32 v7, v8, v7
	s_or_b32 exec_lo, exec_lo, s36
	s_and_saveexec_b32 s36, s15
	s_cbranch_execz .LBB34_47
.LBB34_79:                              ;   in Loop: Header=BB34_31 Depth=1
	ds_load_b32 v8, v1 offset:8252
	s_wait_dscnt 0x0
	v_add_nc_u32_e32 v7, v8, v7
	s_or_b32 exec_lo, exec_lo, s36
	s_and_saveexec_b32 s36, s16
	s_cbranch_execz .LBB34_48
.LBB34_80:                              ;   in Loop: Header=BB34_31 Depth=1
	ds_load_b32 v8, v1 offset:8256
	s_wait_dscnt 0x0
	v_add_nc_u32_e32 v7, v8, v7
	s_or_b32 exec_lo, exec_lo, s36
	s_and_saveexec_b32 s36, s17
	s_cbranch_execz .LBB34_49
.LBB34_81:                              ;   in Loop: Header=BB34_31 Depth=1
	ds_load_b32 v8, v1 offset:8260
	s_wait_dscnt 0x0
	v_add_nc_u32_e32 v7, v8, v7
	s_or_b32 exec_lo, exec_lo, s36
	s_and_saveexec_b32 s36, s18
	s_cbranch_execz .LBB34_50
.LBB34_82:                              ;   in Loop: Header=BB34_31 Depth=1
	ds_load_b32 v8, v1 offset:8264
	s_wait_dscnt 0x0
	v_add_nc_u32_e32 v7, v8, v7
	s_or_b32 exec_lo, exec_lo, s36
	s_and_saveexec_b32 s36, s19
	s_cbranch_execz .LBB34_51
.LBB34_83:                              ;   in Loop: Header=BB34_31 Depth=1
	ds_load_b32 v8, v1 offset:8268
	s_wait_dscnt 0x0
	v_add_nc_u32_e32 v7, v8, v7
	s_or_b32 exec_lo, exec_lo, s36
	s_and_saveexec_b32 s36, s20
	s_cbranch_execz .LBB34_52
.LBB34_84:                              ;   in Loop: Header=BB34_31 Depth=1
	ds_load_b32 v8, v1 offset:8272
	s_wait_dscnt 0x0
	v_add_nc_u32_e32 v7, v8, v7
	s_or_b32 exec_lo, exec_lo, s36
	s_and_saveexec_b32 s36, s21
	s_cbranch_execz .LBB34_53
.LBB34_85:                              ;   in Loop: Header=BB34_31 Depth=1
	ds_load_b32 v8, v1 offset:8276
	s_wait_dscnt 0x0
	v_add_nc_u32_e32 v7, v8, v7
	s_or_b32 exec_lo, exec_lo, s36
	s_and_saveexec_b32 s36, s22
	s_cbranch_execz .LBB34_54
.LBB34_86:                              ;   in Loop: Header=BB34_31 Depth=1
	ds_load_b32 v8, v1 offset:8280
	s_wait_dscnt 0x0
	v_add_nc_u32_e32 v7, v8, v7
	s_or_b32 exec_lo, exec_lo, s36
	s_and_saveexec_b32 s36, s23
	s_cbranch_execz .LBB34_55
.LBB34_87:                              ;   in Loop: Header=BB34_31 Depth=1
	ds_load_b32 v8, v1 offset:8284
	s_wait_dscnt 0x0
	v_add_nc_u32_e32 v7, v8, v7
	s_or_b32 exec_lo, exec_lo, s36
	s_and_saveexec_b32 s36, s24
	s_cbranch_execz .LBB34_56
.LBB34_88:                              ;   in Loop: Header=BB34_31 Depth=1
	ds_load_b32 v8, v1 offset:8288
	s_wait_dscnt 0x0
	v_add_nc_u32_e32 v7, v8, v7
	s_or_b32 exec_lo, exec_lo, s36
	s_and_saveexec_b32 s36, s25
	s_cbranch_execz .LBB34_57
.LBB34_89:                              ;   in Loop: Header=BB34_31 Depth=1
	ds_load_b32 v8, v1 offset:8292
	s_wait_dscnt 0x0
	v_add_nc_u32_e32 v7, v8, v7
	s_or_b32 exec_lo, exec_lo, s36
	s_and_saveexec_b32 s36, s26
	s_cbranch_execz .LBB34_58
.LBB34_90:                              ;   in Loop: Header=BB34_31 Depth=1
	ds_load_b32 v8, v1 offset:8296
	s_wait_dscnt 0x0
	v_add_nc_u32_e32 v7, v8, v7
	s_or_b32 exec_lo, exec_lo, s36
	s_and_saveexec_b32 s36, s27
	s_cbranch_execz .LBB34_59
.LBB34_91:                              ;   in Loop: Header=BB34_31 Depth=1
	ds_load_b32 v8, v1 offset:8300
	s_wait_dscnt 0x0
	v_add_nc_u32_e32 v7, v8, v7
	s_or_b32 exec_lo, exec_lo, s36
	s_and_saveexec_b32 s36, s28
	s_cbranch_execz .LBB34_60
.LBB34_92:                              ;   in Loop: Header=BB34_31 Depth=1
	ds_load_b32 v8, v1 offset:8304
	s_wait_dscnt 0x0
	v_add_nc_u32_e32 v7, v8, v7
	s_or_b32 exec_lo, exec_lo, s36
	s_and_saveexec_b32 s36, s29
	s_cbranch_execz .LBB34_61
.LBB34_93:                              ;   in Loop: Header=BB34_31 Depth=1
	ds_load_b32 v8, v1 offset:8308
	s_wait_dscnt 0x0
	v_add_nc_u32_e32 v7, v8, v7
	s_or_b32 exec_lo, exec_lo, s36
	s_and_saveexec_b32 s36, s30
	s_cbranch_execz .LBB34_62
.LBB34_94:                              ;   in Loop: Header=BB34_31 Depth=1
	ds_load_b32 v8, v1 offset:8312
	s_wait_dscnt 0x0
	v_add_nc_u32_e32 v7, v8, v7
	s_or_b32 exec_lo, exec_lo, s36
	s_and_saveexec_b32 s36, s31
	s_cbranch_execz .LBB34_63
.LBB34_95:                              ;   in Loop: Header=BB34_31 Depth=1
	s_delay_alu instid0(VALU_DEP_1) | instskip(NEXT) | instid1(VALU_DEP_1)
	v_dual_lshlrev_b32 v8, 2, v5 :: v_dual_lshlrev_b32 v9, 2, v7
	v_add_nc_u32_e32 v8, 0, v8
	s_delay_alu instid0(VALU_DEP_1)
	v_add3_u32 v8, v8, v9, -4
	ds_store_b32 v8, v6
	s_or_b32 exec_lo, exec_lo, s36
	s_and_saveexec_b32 s31, vcc_lo
	s_cbranch_execz .LBB34_30
.LBB34_96:                              ;   in Loop: Header=BB34_31 Depth=1
	ds_store_b32 v1, v7 offset:8316
	s_branch .LBB34_30
.LBB34_97:
	s_or_b32 exec_lo, exec_lo, s35
	s_ashr_i32 s35, s34, 31
	s_delay_alu instid0(SALU_CYCLE_1) | instskip(NEXT) | instid1(SALU_CYCLE_1)
	s_lshl_b64 s[0:1], s[34:35], 3
	s_add_nc_u64 s[4:5], s[40:41], s[0:1]
	s_load_b128 s[0:3], s[4:5], 0x0
	s_wait_xcnt 0x0
	s_mov_b32 s4, exec_lo
	s_wait_kmcnt 0x0
	s_sub_co_i32 s3, s2, s0
	s_delay_alu instid0(SALU_CYCLE_1)
	v_cmpx_gt_i32_e64 s3, v0
	s_cbranch_execz .LBB34_107
; %bb.98:
	s_sub_co_i32 s4, s0, s2
	s_and_b32 s2, s3, 7
	s_cmp_lt_u32 s4, -7
	s_mov_b32 s39, 0
	s_cselect_b32 s4, -1, 0
	s_and_b32 s5, s3, -8
	s_cmp_lg_u32 s2, 0
	s_sub_nc_u64 s[0:1], s[0:1], s[38:39]
	s_cselect_b32 s6, -1, 0
	s_mov_b32 s7, 0
	s_branch .LBB34_100
.LBB34_99:                              ;   in Loop: Header=BB34_100 Depth=1
	v_add_nc_u32_e32 v0, 0x400, v0
	s_wait_dscnt 0x0
	v_add_nc_u32_e32 v1, s38, v1
	s_delay_alu instid0(VALU_DEP_3) | instskip(NEXT) | instid1(VALU_DEP_3)
	v_lshl_add_u64 v[2:3], v[2:3], 2, s[42:43]
	v_cmp_le_i32_e32 vcc_lo, s3, v0
	global_store_b32 v[2:3], v1, off
	s_or_b32 s7, vcc_lo, s7
	s_wait_xcnt 0x0
	s_and_not1_b32 exec_lo, exec_lo, s7
	s_cbranch_execz .LBB34_107
.LBB34_100:                             ; =>This Loop Header: Depth=1
                                        ;     Child Loop BB34_102 Depth 2
                                        ;     Child Loop BB34_106 Depth 2
	v_lshl_add_u32 v1, v0, 2, 0
	v_mov_b64_e32 v[2:3], s[0:1]
	s_and_not1_b32 vcc_lo, exec_lo, s4
	s_mov_b32 s8, 0
	ds_load_b32 v1, v1
	s_cbranch_vccnz .LBB34_104
; %bb.101:                              ;   in Loop: Header=BB34_100 Depth=1
	v_mov_b64_e32 v[2:3], s[0:1]
	s_mov_b32 s9, 0
.LBB34_102:                             ;   Parent Loop BB34_100 Depth=1
                                        ; =>  This Inner Loop Header: Depth=2
	s_delay_alu instid0(SALU_CYCLE_1)
	v_dual_mov_b32 v8, s9 :: v_dual_mov_b32 v9, s39
	v_mov_b32_e32 v15, s39
	s_add_co_i32 s8, s8, 8
	s_add_co_i32 s9, s9, 32
	ds_load_2addr_b32 v[4:5], v8 offset1:1
	ds_load_2addr_b32 v[6:7], v8 offset0:2 offset1:3
	ds_load_2addr_b32 v[10:11], v8 offset0:4 offset1:5
	;; [unrolled: 1-line block ×3, first 2 shown]
	s_cmp_eq_u32 s5, s8
	s_wait_dscnt 0x3
	v_cmp_gt_i32_e32 vcc_lo, v1, v4
	v_cndmask_b32_e64 v8, 0, 1, vcc_lo
	v_cmp_gt_i32_e32 vcc_lo, v1, v5
	v_mov_b32_e32 v5, s39
	s_delay_alu instid0(VALU_DEP_3) | instskip(SKIP_4) | instid1(VALU_DEP_3)
	v_add_nc_u64_e32 v[2:3], v[2:3], v[8:9]
	v_cndmask_b32_e64 v14, 0, 1, vcc_lo
	s_wait_dscnt 0x2
	v_cmp_gt_i32_e32 vcc_lo, v1, v6
	v_cndmask_b32_e64 v4, 0, 1, vcc_lo
	v_add_nc_u64_e32 v[2:3], v[2:3], v[14:15]
	v_cmp_gt_i32_e32 vcc_lo, v1, v7
	v_mov_b32_e32 v7, s39
	v_cndmask_b32_e64 v8, 0, 1, vcc_lo
	s_delay_alu instid0(VALU_DEP_4) | instskip(SKIP_3) | instid1(VALU_DEP_3)
	v_add_nc_u64_e32 v[2:3], v[2:3], v[4:5]
	s_wait_dscnt 0x1
	v_cmp_gt_i32_e32 vcc_lo, v1, v10
	v_cndmask_b32_e64 v4, 0, 1, vcc_lo
	v_add_nc_u64_e32 v[2:3], v[2:3], v[8:9]
	v_cmp_gt_i32_e32 vcc_lo, v1, v11
	v_cndmask_b32_e64 v6, 0, 1, vcc_lo
	s_delay_alu instid0(VALU_DEP_3) | instskip(SKIP_3) | instid1(VALU_DEP_3)
	v_add_nc_u64_e32 v[2:3], v[2:3], v[4:5]
	s_wait_dscnt 0x0
	v_cmp_gt_i32_e32 vcc_lo, v1, v12
	v_cndmask_b32_e64 v4, 0, 1, vcc_lo
	v_add_nc_u64_e32 v[2:3], v[2:3], v[6:7]
	v_cmp_gt_i32_e32 vcc_lo, v1, v13
	v_cndmask_b32_e64 v6, 0, 1, vcc_lo
	s_delay_alu instid0(VALU_DEP_3) | instskip(NEXT) | instid1(VALU_DEP_1)
	v_add_nc_u64_e32 v[2:3], v[2:3], v[4:5]
	v_add_nc_u64_e32 v[2:3], v[2:3], v[6:7]
	s_cbranch_scc0 .LBB34_102
; %bb.103:                              ;   in Loop: Header=BB34_100 Depth=1
	s_mov_b32 s8, s5
.LBB34_104:                             ;   in Loop: Header=BB34_100 Depth=1
	s_and_not1_b32 vcc_lo, exec_lo, s6
	s_cbranch_vccnz .LBB34_99
; %bb.105:                              ;   in Loop: Header=BB34_100 Depth=1
	s_lshl_b32 s8, s8, 2
	s_mov_b32 s9, s2
	s_add_co_i32 s8, s8, 0
.LBB34_106:                             ;   Parent Loop BB34_100 Depth=1
                                        ; =>  This Inner Loop Header: Depth=2
	s_delay_alu instid0(SALU_CYCLE_1)
	v_dual_mov_b32 v4, s8 :: v_dual_mov_b32 v5, s39
	s_add_co_i32 s9, s9, -1
	s_add_co_i32 s8, s8, 4
	s_cmp_lg_u32 s9, 0
	ds_load_b32 v4, v4
	s_wait_dscnt 0x0
	v_cmp_gt_i32_e32 vcc_lo, v1, v4
	v_cndmask_b32_e64 v4, 0, 1, vcc_lo
	s_delay_alu instid0(VALU_DEP_1)
	v_add_nc_u64_e32 v[2:3], v[2:3], v[4:5]
	s_cbranch_scc1 .LBB34_106
	s_branch .LBB34_99
.LBB34_107:
	s_endpgm
	.section	.rodata,"a",@progbits
	.p2align	6, 0x0
	.amdhsa_kernel _ZN9rocsparseL35csrgemm_symbolic_fill_block_per_rowILj1024ELj32ELj2048ELj137ELj32EliEEvT5_PKS1_S3_PKT4_S3_S6_S3_S6_S3_S6_PS1_21rocsparse_index_base_S8_S8_S8_bb
		.amdhsa_group_segment_fixed_size 0
		.amdhsa_private_segment_fixed_size 0
		.amdhsa_kernarg_size 108
		.amdhsa_user_sgpr_count 2
		.amdhsa_user_sgpr_dispatch_ptr 0
		.amdhsa_user_sgpr_queue_ptr 0
		.amdhsa_user_sgpr_kernarg_segment_ptr 1
		.amdhsa_user_sgpr_dispatch_id 0
		.amdhsa_user_sgpr_kernarg_preload_length 0
		.amdhsa_user_sgpr_kernarg_preload_offset 0
		.amdhsa_user_sgpr_private_segment_size 0
		.amdhsa_wavefront_size32 1
		.amdhsa_uses_dynamic_stack 0
		.amdhsa_enable_private_segment 0
		.amdhsa_system_sgpr_workgroup_id_x 1
		.amdhsa_system_sgpr_workgroup_id_y 0
		.amdhsa_system_sgpr_workgroup_id_z 0
		.amdhsa_system_sgpr_workgroup_info 0
		.amdhsa_system_vgpr_workitem_id 0
		.amdhsa_next_free_vgpr 18
		.amdhsa_next_free_sgpr 44
		.amdhsa_named_barrier_count 0
		.amdhsa_reserve_vcc 1
		.amdhsa_float_round_mode_32 0
		.amdhsa_float_round_mode_16_64 0
		.amdhsa_float_denorm_mode_32 3
		.amdhsa_float_denorm_mode_16_64 3
		.amdhsa_fp16_overflow 0
		.amdhsa_memory_ordered 1
		.amdhsa_forward_progress 1
		.amdhsa_inst_pref_size 28
		.amdhsa_round_robin_scheduling 0
		.amdhsa_exception_fp_ieee_invalid_op 0
		.amdhsa_exception_fp_denorm_src 0
		.amdhsa_exception_fp_ieee_div_zero 0
		.amdhsa_exception_fp_ieee_overflow 0
		.amdhsa_exception_fp_ieee_underflow 0
		.amdhsa_exception_fp_ieee_inexact 0
		.amdhsa_exception_int_div_zero 0
	.end_amdhsa_kernel
	.section	.text._ZN9rocsparseL35csrgemm_symbolic_fill_block_per_rowILj1024ELj32ELj2048ELj137ELj32EliEEvT5_PKS1_S3_PKT4_S3_S6_S3_S6_S3_S6_PS1_21rocsparse_index_base_S8_S8_S8_bb,"axG",@progbits,_ZN9rocsparseL35csrgemm_symbolic_fill_block_per_rowILj1024ELj32ELj2048ELj137ELj32EliEEvT5_PKS1_S3_PKT4_S3_S6_S3_S6_S3_S6_PS1_21rocsparse_index_base_S8_S8_S8_bb,comdat
.Lfunc_end34:
	.size	_ZN9rocsparseL35csrgemm_symbolic_fill_block_per_rowILj1024ELj32ELj2048ELj137ELj32EliEEvT5_PKS1_S3_PKT4_S3_S6_S3_S6_S3_S6_PS1_21rocsparse_index_base_S8_S8_S8_bb, .Lfunc_end34-_ZN9rocsparseL35csrgemm_symbolic_fill_block_per_rowILj1024ELj32ELj2048ELj137ELj32EliEEvT5_PKS1_S3_PKT4_S3_S6_S3_S6_S3_S6_PS1_21rocsparse_index_base_S8_S8_S8_bb
                                        ; -- End function
	.set _ZN9rocsparseL35csrgemm_symbolic_fill_block_per_rowILj1024ELj32ELj2048ELj137ELj32EliEEvT5_PKS1_S3_PKT4_S3_S6_S3_S6_S3_S6_PS1_21rocsparse_index_base_S8_S8_S8_bb.num_vgpr, 18
	.set _ZN9rocsparseL35csrgemm_symbolic_fill_block_per_rowILj1024ELj32ELj2048ELj137ELj32EliEEvT5_PKS1_S3_PKT4_S3_S6_S3_S6_S3_S6_PS1_21rocsparse_index_base_S8_S8_S8_bb.num_agpr, 0
	.set _ZN9rocsparseL35csrgemm_symbolic_fill_block_per_rowILj1024ELj32ELj2048ELj137ELj32EliEEvT5_PKS1_S3_PKT4_S3_S6_S3_S6_S3_S6_PS1_21rocsparse_index_base_S8_S8_S8_bb.numbered_sgpr, 44
	.set _ZN9rocsparseL35csrgemm_symbolic_fill_block_per_rowILj1024ELj32ELj2048ELj137ELj32EliEEvT5_PKS1_S3_PKT4_S3_S6_S3_S6_S3_S6_PS1_21rocsparse_index_base_S8_S8_S8_bb.num_named_barrier, 0
	.set _ZN9rocsparseL35csrgemm_symbolic_fill_block_per_rowILj1024ELj32ELj2048ELj137ELj32EliEEvT5_PKS1_S3_PKT4_S3_S6_S3_S6_S3_S6_PS1_21rocsparse_index_base_S8_S8_S8_bb.private_seg_size, 0
	.set _ZN9rocsparseL35csrgemm_symbolic_fill_block_per_rowILj1024ELj32ELj2048ELj137ELj32EliEEvT5_PKS1_S3_PKT4_S3_S6_S3_S6_S3_S6_PS1_21rocsparse_index_base_S8_S8_S8_bb.uses_vcc, 1
	.set _ZN9rocsparseL35csrgemm_symbolic_fill_block_per_rowILj1024ELj32ELj2048ELj137ELj32EliEEvT5_PKS1_S3_PKT4_S3_S6_S3_S6_S3_S6_PS1_21rocsparse_index_base_S8_S8_S8_bb.uses_flat_scratch, 0
	.set _ZN9rocsparseL35csrgemm_symbolic_fill_block_per_rowILj1024ELj32ELj2048ELj137ELj32EliEEvT5_PKS1_S3_PKT4_S3_S6_S3_S6_S3_S6_PS1_21rocsparse_index_base_S8_S8_S8_bb.has_dyn_sized_stack, 0
	.set _ZN9rocsparseL35csrgemm_symbolic_fill_block_per_rowILj1024ELj32ELj2048ELj137ELj32EliEEvT5_PKS1_S3_PKT4_S3_S6_S3_S6_S3_S6_PS1_21rocsparse_index_base_S8_S8_S8_bb.has_recursion, 0
	.set _ZN9rocsparseL35csrgemm_symbolic_fill_block_per_rowILj1024ELj32ELj2048ELj137ELj32EliEEvT5_PKS1_S3_PKT4_S3_S6_S3_S6_S3_S6_PS1_21rocsparse_index_base_S8_S8_S8_bb.has_indirect_call, 0
	.section	.AMDGPU.csdata,"",@progbits
; Kernel info:
; codeLenInByte = 3556
; TotalNumSgprs: 46
; NumVgprs: 18
; ScratchSize: 0
; MemoryBound: 0
; FloatMode: 240
; IeeeMode: 1
; LDSByteSize: 0 bytes/workgroup (compile time only)
; SGPRBlocks: 0
; VGPRBlocks: 1
; NumSGPRsForWavesPerEU: 46
; NumVGPRsForWavesPerEU: 18
; NamedBarCnt: 0
; Occupancy: 16
; WaveLimiterHint : 1
; COMPUTE_PGM_RSRC2:SCRATCH_EN: 0
; COMPUTE_PGM_RSRC2:USER_SGPR: 2
; COMPUTE_PGM_RSRC2:TRAP_HANDLER: 0
; COMPUTE_PGM_RSRC2:TGID_X_EN: 1
; COMPUTE_PGM_RSRC2:TGID_Y_EN: 0
; COMPUTE_PGM_RSRC2:TGID_Z_EN: 0
; COMPUTE_PGM_RSRC2:TIDIG_COMP_CNT: 0
	.section	.text._ZN9rocsparseL35csrgemm_symbolic_fill_block_per_rowILj1024ELj32ELj2048ELj137ELj64EliEEvT5_PKS1_S3_PKT4_S3_S6_S3_S6_S3_S6_PS1_21rocsparse_index_base_S8_S8_S8_bb,"axG",@progbits,_ZN9rocsparseL35csrgemm_symbolic_fill_block_per_rowILj1024ELj32ELj2048ELj137ELj64EliEEvT5_PKS1_S3_PKT4_S3_S6_S3_S6_S3_S6_PS1_21rocsparse_index_base_S8_S8_S8_bb,comdat
	.globl	_ZN9rocsparseL35csrgemm_symbolic_fill_block_per_rowILj1024ELj32ELj2048ELj137ELj64EliEEvT5_PKS1_S3_PKT4_S3_S6_S3_S6_S3_S6_PS1_21rocsparse_index_base_S8_S8_S8_bb ; -- Begin function _ZN9rocsparseL35csrgemm_symbolic_fill_block_per_rowILj1024ELj32ELj2048ELj137ELj64EliEEvT5_PKS1_S3_PKT4_S3_S6_S3_S6_S3_S6_PS1_21rocsparse_index_base_S8_S8_S8_bb
	.p2align	8
	.type	_ZN9rocsparseL35csrgemm_symbolic_fill_block_per_rowILj1024ELj32ELj2048ELj137ELj64EliEEvT5_PKS1_S3_PKT4_S3_S6_S3_S6_S3_S6_PS1_21rocsparse_index_base_S8_S8_S8_bb,@function
_ZN9rocsparseL35csrgemm_symbolic_fill_block_per_rowILj1024ELj32ELj2048ELj137ELj64EliEEvT5_PKS1_S3_PKT4_S3_S6_S3_S6_S3_S6_PS1_21rocsparse_index_base_S8_S8_S8_bb: ; @_ZN9rocsparseL35csrgemm_symbolic_fill_block_per_rowILj1024ELj32ELj2048ELj137ELj64EliEEvT5_PKS1_S3_PKT4_S3_S6_S3_S6_S3_S6_PS1_21rocsparse_index_base_S8_S8_S8_bb
; %bb.0:
	s_clause 0x1
	s_load_b32 s26, s[0:1], 0x0
	s_load_b128 s[4:7], s[0:1], 0x8
	v_lshl_add_u32 v10, v0, 2, 0
	s_bfe_u32 s3, ttmp6, 0x4000c
	s_load_b32 s12, s[0:1], 0x68
	s_add_co_i32 s3, s3, 1
	s_delay_alu instid0(SALU_CYCLE_1)
	s_mul_i32 s3, ttmp9, s3
	s_wait_kmcnt 0x0
	v_dual_mov_b32 v1, s26 :: v_dual_mov_b32 v2, s26
	ds_store_2addr_stride64_b32 v10, v1, v2 offset1:16
	s_wait_dscnt 0x0
	s_barrier_signal -1
	s_barrier_wait -1
	s_load_b32 s2, s[4:5], 0x0
	s_wait_xcnt 0x0
	s_and_b32 s4, ttmp6, 15
	s_getreg_b32 s5, hwreg(HW_REG_IB_STS2, 6, 4)
	s_add_co_i32 s4, s4, s3
	s_cmp_eq_u32 s5, 0
	s_cselect_b32 s3, ttmp9, s4
	s_wait_kmcnt 0x0
	s_add_co_i32 s2, s2, s3
	s_load_b128 s[16:19], s[0:1], 0x58
	s_load_b32 s24, s[6:7], s2 offset:0x0 scale_offset
	s_bitcmp0_b32 s12, 0
	s_mov_b32 s3, 0
	s_cbranch_scc1 .LBB35_16
; %bb.1:
	s_load_b64 s[4:5], s[0:1], 0x18
	s_wait_kmcnt 0x0
	s_ashr_i32 s25, s24, 31
	v_dual_mov_b32 v5, 0 :: v_dual_lshrrev_b32 v4, 5, v0
	s_lshl_b64 s[6:7], s[24:25], 3
	s_mov_b32 s2, s16
	s_mov_b32 s13, exec_lo
	s_delay_alu instid0(VALU_DEP_1) | instskip(SKIP_3) | instid1(VALU_DEP_1)
	v_sub_nc_u64_e64 v[2:3], v[4:5], s[2:3]
	s_add_nc_u64 s[8:9], s[4:5], s[6:7]
	s_load_b128 s[4:7], s[8:9], 0x0
	s_wait_kmcnt 0x0
	v_add_nc_u64_e32 v[2:3], s[4:5], v[2:3]
	s_sub_nc_u64 s[2:3], s[6:7], s[2:3]
	s_delay_alu instid0(VALU_DEP_1) | instid1(SALU_CYCLE_1)
	v_cmpx_gt_i64_e64 s[2:3], v[2:3]
	s_cbranch_execz .LBB35_15
; %bb.2:
	s_clause 0x1
	s_load_b128 s[4:7], s[0:1], 0x20
	s_load_b64 s[8:9], s[0:1], 0x30
	v_and_b32_e32 v4, 31, v0
	s_mov_b32 s11, 0
	s_mov_b32 s10, s17
	;; [unrolled: 1-line block ×3, first 2 shown]
	s_delay_alu instid0(VALU_DEP_1)
	v_sub_nc_u64_e64 v[4:5], v[4:5], s[10:11]
	s_branch .LBB35_4
.LBB35_3:                               ;   in Loop: Header=BB35_4 Depth=1
	s_or_b32 exec_lo, exec_lo, s15
	v_add_nc_u64_e32 v[2:3], 32, v[2:3]
	s_delay_alu instid0(VALU_DEP_1) | instskip(SKIP_1) | instid1(SALU_CYCLE_1)
	v_cmp_le_i64_e32 vcc_lo, s[2:3], v[2:3]
	s_or_b32 s14, vcc_lo, s14
	s_and_not1_b32 exec_lo, exec_lo, s14
	s_cbranch_execz .LBB35_15
.LBB35_4:                               ; =>This Loop Header: Depth=1
                                        ;     Child Loop BB35_7 Depth 2
                                        ;       Child Loop BB35_10 Depth 3
	s_wait_kmcnt 0x0
	v_lshl_add_u64 v[6:7], v[2:3], 2, s[4:5]
	s_mov_b32 s15, exec_lo
	global_load_b32 v1, v[6:7], off
	s_wait_loadcnt 0x0
	v_subrev_nc_u32_e32 v6, s16, v1
	s_delay_alu instid0(VALU_DEP_1) | instskip(NEXT) | instid1(VALU_DEP_1)
	v_ashrrev_i32_e32 v7, 31, v6
	v_lshl_add_u64 v[6:7], v[6:7], 3, s[6:7]
	global_load_b128 v[12:15], v[6:7], off
	s_wait_loadcnt 0x0
	v_sub_nc_u64_e64 v[6:7], v[14:15], s[10:11]
	v_add_nc_u64_e32 v[8:9], v[12:13], v[4:5]
	s_delay_alu instid0(VALU_DEP_1)
	v_cmpx_lt_i64_e64 v[8:9], v[6:7]
	s_cbranch_execz .LBB35_3
; %bb.5:                                ;   in Loop: Header=BB35_4 Depth=1
	s_mov_b32 s20, 0
	s_branch .LBB35_7
.LBB35_6:                               ;   in Loop: Header=BB35_7 Depth=2
	s_or_b32 exec_lo, exec_lo, s21
	v_add_nc_u64_e32 v[8:9], 32, v[8:9]
	s_delay_alu instid0(VALU_DEP_1) | instskip(SKIP_1) | instid1(SALU_CYCLE_1)
	v_cmp_ge_i64_e32 vcc_lo, v[8:9], v[6:7]
	s_or_b32 s20, vcc_lo, s20
	s_and_not1_b32 exec_lo, exec_lo, s20
	s_cbranch_execz .LBB35_3
.LBB35_7:                               ;   Parent Loop BB35_4 Depth=1
                                        ; =>  This Loop Header: Depth=2
                                        ;       Child Loop BB35_10 Depth 3
	v_lshl_add_u64 v[12:13], v[8:9], 2, s[8:9]
	s_mov_b32 s21, 0
                                        ; implicit-def: $sgpr22
	global_load_b32 v1, v[12:13], off
	s_wait_loadcnt 0x0
	v_subrev_nc_u32_e32 v1, s17, v1
	s_delay_alu instid0(VALU_DEP_1) | instskip(NEXT) | instid1(VALU_DEP_1)
	v_mul_lo_u32 v11, 0x89, v1
	v_and_b32_e32 v11, 0x7ff, v11
	s_branch .LBB35_10
.LBB35_8:                               ;   in Loop: Header=BB35_10 Depth=3
	s_or_b32 exec_lo, exec_lo, s25
	s_delay_alu instid0(SALU_CYCLE_1) | instskip(SKIP_1) | instid1(SALU_CYCLE_1)
	s_and_not1_b32 s22, s22, exec_lo
	s_and_b32 s25, s27, exec_lo
	s_or_b32 s22, s22, s25
.LBB35_9:                               ;   in Loop: Header=BB35_10 Depth=3
	s_or_b32 exec_lo, exec_lo, s23
	s_xor_b32 s23, s22, -1
	s_delay_alu instid0(SALU_CYCLE_1) | instskip(NEXT) | instid1(SALU_CYCLE_1)
	s_and_b32 s23, exec_lo, s23
	s_or_b32 s21, s23, s21
	s_delay_alu instid0(SALU_CYCLE_1)
	s_and_not1_b32 exec_lo, exec_lo, s21
	s_cbranch_execz .LBB35_6
.LBB35_10:                              ;   Parent Loop BB35_4 Depth=1
                                        ;     Parent Loop BB35_7 Depth=2
                                        ; =>    This Inner Loop Header: Depth=3
	s_delay_alu instid0(VALU_DEP_1)
	v_lshl_add_u32 v12, v11, 2, 0
	s_and_not1_b32 s22, s22, exec_lo
	s_mov_b32 s23, exec_lo
	ds_load_b32 v13, v12
	s_wait_dscnt 0x0
	v_cmpx_ne_u32_e64 v13, v1
	s_cbranch_execz .LBB35_9
; %bb.11:                               ;   in Loop: Header=BB35_10 Depth=3
	s_mov_b32 s25, exec_lo
	v_cmpx_ne_u32_e64 s26, v13
	s_xor_b32 s25, exec_lo, s25
; %bb.12:                               ;   in Loop: Header=BB35_10 Depth=3
	v_add_nc_u32_e32 v11, 1, v11
                                        ; implicit-def: $vgpr12
	s_delay_alu instid0(VALU_DEP_1)
	v_and_b32_e32 v11, 0x7ff, v11
; %bb.13:                               ;   in Loop: Header=BB35_10 Depth=3
	s_or_saveexec_b32 s25, s25
	s_mov_b32 s27, -1
	s_xor_b32 exec_lo, exec_lo, s25
	s_cbranch_execz .LBB35_8
; %bb.14:                               ;   in Loop: Header=BB35_10 Depth=3
	v_mov_b32_e32 v13, s26
	ds_cmpstore_rtn_b32 v12, v12, v1, v13
	s_wait_dscnt 0x0
	v_cmp_ne_u32_e32 vcc_lo, s26, v12
	s_or_not1_b32 s27, vcc_lo, exec_lo
	s_branch .LBB35_8
.LBB35_15:
	s_or_b32 exec_lo, exec_lo, s13
.LBB35_16:
	s_wait_xcnt 0x0
	s_bfe_u32 s2, s12, 0x10008
	s_delay_alu instid0(SALU_CYCLE_1)
	s_cmp_eq_u32 s2, 0
	s_cbranch_scc1 .LBB35_29
; %bb.17:
	s_load_b64 s[2:3], s[0:1], 0x38
	s_wait_kmcnt 0x0
	s_ashr_i32 s25, s24, 31
	v_mov_b32_e32 v1, 0
	s_lshl_b64 s[4:5], s[24:25], 3
	s_delay_alu instid0(SALU_CYCLE_1) | instskip(SKIP_4) | instid1(SALU_CYCLE_1)
	s_add_nc_u64 s[2:3], s[2:3], s[4:5]
	s_load_b128 s[4:7], s[2:3], 0x0
	s_wait_xcnt 0x0
	s_mov_b32 s3, 0
	s_mov_b32 s2, s19
	v_sub_nc_u64_e64 v[2:3], v[0:1], s[2:3]
	s_wait_kmcnt 0x0
	s_delay_alu instid0(VALU_DEP_1) | instskip(SKIP_2) | instid1(VALU_DEP_1)
	v_add_nc_u64_e32 v[2:3], s[4:5], v[2:3]
	s_sub_nc_u64 s[4:5], s[6:7], s[2:3]
	s_mov_b32 s2, exec_lo
	v_cmpx_gt_i64_e64 s[4:5], v[2:3]
	s_cbranch_execz .LBB35_28
; %bb.18:
	s_load_b64 s[6:7], s[0:1], 0x40
	s_branch .LBB35_20
.LBB35_19:                              ;   in Loop: Header=BB35_20 Depth=1
	s_or_b32 exec_lo, exec_lo, s8
	v_add_nc_u64_e32 v[2:3], 0x400, v[2:3]
	s_delay_alu instid0(VALU_DEP_1) | instskip(SKIP_1) | instid1(SALU_CYCLE_1)
	v_cmp_le_i64_e32 vcc_lo, s[4:5], v[2:3]
	s_or_b32 s3, vcc_lo, s3
	s_and_not1_b32 exec_lo, exec_lo, s3
	s_cbranch_execz .LBB35_28
.LBB35_20:                              ; =>This Loop Header: Depth=1
                                        ;     Child Loop BB35_23 Depth 2
	s_wait_kmcnt 0x0
	v_lshl_add_u64 v[4:5], v[2:3], 2, s[6:7]
	s_mov_b32 s8, 0
                                        ; implicit-def: $sgpr9
	global_load_b32 v1, v[4:5], off
	s_wait_loadcnt 0x0
	v_subrev_nc_u32_e32 v1, s19, v1
	s_delay_alu instid0(VALU_DEP_1) | instskip(NEXT) | instid1(VALU_DEP_1)
	v_mul_lo_u32 v4, 0x89, v1
	v_and_b32_e32 v4, 0x7ff, v4
	s_branch .LBB35_23
.LBB35_21:                              ;   in Loop: Header=BB35_23 Depth=2
	s_or_b32 exec_lo, exec_lo, s11
	s_delay_alu instid0(SALU_CYCLE_1) | instskip(SKIP_1) | instid1(SALU_CYCLE_1)
	s_and_not1_b32 s9, s9, exec_lo
	s_and_b32 s11, s12, exec_lo
	s_or_b32 s9, s9, s11
.LBB35_22:                              ;   in Loop: Header=BB35_23 Depth=2
	s_or_b32 exec_lo, exec_lo, s10
	s_xor_b32 s10, s9, -1
	s_delay_alu instid0(SALU_CYCLE_1) | instskip(NEXT) | instid1(SALU_CYCLE_1)
	s_and_b32 s10, exec_lo, s10
	s_or_b32 s8, s10, s8
	s_delay_alu instid0(SALU_CYCLE_1)
	s_and_not1_b32 exec_lo, exec_lo, s8
	s_cbranch_execz .LBB35_19
.LBB35_23:                              ;   Parent Loop BB35_20 Depth=1
                                        ; =>  This Inner Loop Header: Depth=2
	s_delay_alu instid0(VALU_DEP_1)
	v_lshl_add_u32 v5, v4, 2, 0
	s_and_not1_b32 s9, s9, exec_lo
	s_mov_b32 s10, exec_lo
	ds_load_b32 v6, v5
	s_wait_dscnt 0x0
	v_cmpx_ne_u32_e64 v6, v1
	s_cbranch_execz .LBB35_22
; %bb.24:                               ;   in Loop: Header=BB35_23 Depth=2
	s_mov_b32 s11, exec_lo
	v_cmpx_ne_u32_e64 s26, v6
	s_xor_b32 s11, exec_lo, s11
; %bb.25:                               ;   in Loop: Header=BB35_23 Depth=2
	v_add_nc_u32_e32 v4, 1, v4
                                        ; implicit-def: $vgpr5
	s_delay_alu instid0(VALU_DEP_1)
	v_and_b32_e32 v4, 0x7ff, v4
; %bb.26:                               ;   in Loop: Header=BB35_23 Depth=2
	s_or_saveexec_b32 s11, s11
	s_mov_b32 s12, -1
	s_xor_b32 exec_lo, exec_lo, s11
	s_cbranch_execz .LBB35_21
; %bb.27:                               ;   in Loop: Header=BB35_23 Depth=2
	v_mov_b32_e32 v6, s26
	ds_cmpstore_rtn_b32 v5, v5, v1, v6
	s_wait_dscnt 0x0
	v_cmp_ne_u32_e32 vcc_lo, s26, v5
	s_or_not1_b32 s12, vcc_lo, exec_lo
	s_branch .LBB35_21
.LBB35_28:
	s_or_b32 exec_lo, exec_lo, s2
.LBB35_29:
	s_load_b128 s[20:23], s[0:1], 0x48
	v_mbcnt_lo_u32_b32 v1, -1, 0
	v_lshrrev_b32_e32 v2, 4, v0
	s_wait_xcnt 0x0
	v_cmp_lt_u32_e64 s0, 63, v0
	v_cmp_lt_u32_e64 s1, 0x7f, v0
	;; [unrolled: 1-line block ×3, first 2 shown]
	v_xor_b32_e32 v3, 31, v1
	v_dual_mov_b32 v1, 0 :: v_dual_bitop2_b32 v4, 60, v2 bitop3:0x40
	v_cmp_lt_u32_e64 s3, 0xff, v0
	v_cmp_lt_u32_e64 s4, 0x13f, v0
	s_delay_alu instid0(VALU_DEP_4) | instskip(NEXT) | instid1(VALU_DEP_4)
	v_lshrrev_b32_e64 v2, v3, -1
	v_dual_add_nc_u32 v3, 0, v4 :: v_dual_mov_b32 v5, 0
	v_cmp_lt_u32_e64 s5, 0x17f, v0
	v_cmp_lt_u32_e64 s6, 0x1bf, v0
	;; [unrolled: 1-line block ×10, first 2 shown]
	v_or_b32_e32 v4, 0xfffffc00, v0
	s_wait_kmcnt 0x0
	s_mov_b32 s16, 0
	v_cmp_eq_u32_e32 vcc_lo, 0x3ff, v0
	s_barrier_signal -1
	s_barrier_wait -1
	s_branch .LBB35_31
.LBB35_30:                              ;   in Loop: Header=BB35_31 Depth=1
	s_or_b32 exec_lo, exec_lo, s15
	s_wait_dscnt 0x0
	s_barrier_signal -1
	s_barrier_wait -1
	ds_load_b32 v6, v1 offset:8252
	v_add_co_u32 v4, s15, 0x400, v4
	s_xor_b32 s15, s15, -1
	v_add_nc_u32_e32 v10, 0x1000, v10
	s_and_b32 s15, exec_lo, s15
	s_delay_alu instid0(SALU_CYCLE_1)
	s_or_b32 s16, s15, s16
	s_wait_dscnt 0x0
	v_add_nc_u32_e32 v5, v6, v5
	s_and_not1_b32 exec_lo, exec_lo, s16
	s_cbranch_execz .LBB35_65
.LBB35_31:                              ; =>This Inner Loop Header: Depth=1
	ds_load_b32 v6, v10
	s_wait_dscnt 0x0
	s_barrier_signal -1
	s_barrier_wait -1
	v_cmp_gt_i32_e64 s15, s26, v6
	s_bcnt1_i32_b32 s17, s15
	s_delay_alu instid0(SALU_CYCLE_1) | instskip(NEXT) | instid1(VALU_DEP_1)
	v_dual_mov_b32 v8, s17 :: v_dual_bitop2_b32 v7, s15, v2 bitop3:0x40
	v_bcnt_u32_b32 v7, v7, 0
	ds_store_b32 v3, v8 offset:8192
	s_wait_dscnt 0x0
	s_barrier_signal -1
	s_barrier_wait -1
	s_and_saveexec_b32 s17, s0
	s_cbranch_execnz .LBB35_48
; %bb.32:                               ;   in Loop: Header=BB35_31 Depth=1
	s_or_b32 exec_lo, exec_lo, s17
	s_and_saveexec_b32 s17, s1
	s_cbranch_execnz .LBB35_49
.LBB35_33:                              ;   in Loop: Header=BB35_31 Depth=1
	s_or_b32 exec_lo, exec_lo, s17
	s_and_saveexec_b32 s17, s2
	s_cbranch_execnz .LBB35_50
.LBB35_34:                              ;   in Loop: Header=BB35_31 Depth=1
	s_or_b32 exec_lo, exec_lo, s17
	s_and_saveexec_b32 s17, s3
	s_cbranch_execnz .LBB35_51
.LBB35_35:                              ;   in Loop: Header=BB35_31 Depth=1
	s_or_b32 exec_lo, exec_lo, s17
	s_and_saveexec_b32 s17, s4
	s_cbranch_execnz .LBB35_52
.LBB35_36:                              ;   in Loop: Header=BB35_31 Depth=1
	s_or_b32 exec_lo, exec_lo, s17
	s_and_saveexec_b32 s17, s5
	s_cbranch_execnz .LBB35_53
.LBB35_37:                              ;   in Loop: Header=BB35_31 Depth=1
	s_or_b32 exec_lo, exec_lo, s17
	s_and_saveexec_b32 s17, s6
	s_cbranch_execnz .LBB35_54
.LBB35_38:                              ;   in Loop: Header=BB35_31 Depth=1
	s_or_b32 exec_lo, exec_lo, s17
	s_and_saveexec_b32 s17, s7
	s_cbranch_execnz .LBB35_55
.LBB35_39:                              ;   in Loop: Header=BB35_31 Depth=1
	s_or_b32 exec_lo, exec_lo, s17
	s_and_saveexec_b32 s17, s8
	s_cbranch_execnz .LBB35_56
.LBB35_40:                              ;   in Loop: Header=BB35_31 Depth=1
	s_or_b32 exec_lo, exec_lo, s17
	s_and_saveexec_b32 s17, s9
	s_cbranch_execnz .LBB35_57
.LBB35_41:                              ;   in Loop: Header=BB35_31 Depth=1
	s_or_b32 exec_lo, exec_lo, s17
	s_and_saveexec_b32 s17, s10
	s_cbranch_execnz .LBB35_58
.LBB35_42:                              ;   in Loop: Header=BB35_31 Depth=1
	s_or_b32 exec_lo, exec_lo, s17
	s_and_saveexec_b32 s17, s11
	s_cbranch_execnz .LBB35_59
.LBB35_43:                              ;   in Loop: Header=BB35_31 Depth=1
	s_or_b32 exec_lo, exec_lo, s17
	s_and_saveexec_b32 s17, s12
	s_cbranch_execnz .LBB35_60
.LBB35_44:                              ;   in Loop: Header=BB35_31 Depth=1
	s_or_b32 exec_lo, exec_lo, s17
	s_and_saveexec_b32 s17, s13
	s_cbranch_execnz .LBB35_61
.LBB35_45:                              ;   in Loop: Header=BB35_31 Depth=1
	s_or_b32 exec_lo, exec_lo, s17
	s_and_saveexec_b32 s17, s14
	s_cbranch_execnz .LBB35_62
.LBB35_46:                              ;   in Loop: Header=BB35_31 Depth=1
	s_or_b32 exec_lo, exec_lo, s17
	s_and_saveexec_b32 s17, s15
	s_cbranch_execnz .LBB35_63
.LBB35_47:                              ;   in Loop: Header=BB35_31 Depth=1
	s_or_b32 exec_lo, exec_lo, s17
	s_and_saveexec_b32 s15, vcc_lo
	s_cbranch_execz .LBB35_30
	s_branch .LBB35_64
.LBB35_48:                              ;   in Loop: Header=BB35_31 Depth=1
	ds_load_b32 v8, v1 offset:8192
	s_wait_dscnt 0x0
	v_add_nc_u32_e32 v7, v8, v7
	s_or_b32 exec_lo, exec_lo, s17
	s_and_saveexec_b32 s17, s1
	s_cbranch_execz .LBB35_33
.LBB35_49:                              ;   in Loop: Header=BB35_31 Depth=1
	ds_load_b32 v8, v1 offset:8196
	s_wait_dscnt 0x0
	v_add_nc_u32_e32 v7, v8, v7
	s_or_b32 exec_lo, exec_lo, s17
	s_and_saveexec_b32 s17, s2
	s_cbranch_execz .LBB35_34
.LBB35_50:                              ;   in Loop: Header=BB35_31 Depth=1
	ds_load_b32 v8, v1 offset:8200
	s_wait_dscnt 0x0
	v_add_nc_u32_e32 v7, v8, v7
	s_or_b32 exec_lo, exec_lo, s17
	s_and_saveexec_b32 s17, s3
	s_cbranch_execz .LBB35_35
.LBB35_51:                              ;   in Loop: Header=BB35_31 Depth=1
	ds_load_b32 v8, v1 offset:8204
	s_wait_dscnt 0x0
	v_add_nc_u32_e32 v7, v8, v7
	s_or_b32 exec_lo, exec_lo, s17
	s_and_saveexec_b32 s17, s4
	s_cbranch_execz .LBB35_36
.LBB35_52:                              ;   in Loop: Header=BB35_31 Depth=1
	ds_load_b32 v8, v1 offset:8208
	s_wait_dscnt 0x0
	v_add_nc_u32_e32 v7, v8, v7
	s_or_b32 exec_lo, exec_lo, s17
	s_and_saveexec_b32 s17, s5
	s_cbranch_execz .LBB35_37
.LBB35_53:                              ;   in Loop: Header=BB35_31 Depth=1
	ds_load_b32 v8, v1 offset:8212
	s_wait_dscnt 0x0
	v_add_nc_u32_e32 v7, v8, v7
	s_or_b32 exec_lo, exec_lo, s17
	s_and_saveexec_b32 s17, s6
	s_cbranch_execz .LBB35_38
.LBB35_54:                              ;   in Loop: Header=BB35_31 Depth=1
	ds_load_b32 v8, v1 offset:8216
	s_wait_dscnt 0x0
	v_add_nc_u32_e32 v7, v8, v7
	s_or_b32 exec_lo, exec_lo, s17
	s_and_saveexec_b32 s17, s7
	s_cbranch_execz .LBB35_39
.LBB35_55:                              ;   in Loop: Header=BB35_31 Depth=1
	ds_load_b32 v8, v1 offset:8220
	s_wait_dscnt 0x0
	v_add_nc_u32_e32 v7, v8, v7
	s_or_b32 exec_lo, exec_lo, s17
	s_and_saveexec_b32 s17, s8
	s_cbranch_execz .LBB35_40
.LBB35_56:                              ;   in Loop: Header=BB35_31 Depth=1
	ds_load_b32 v8, v1 offset:8224
	s_wait_dscnt 0x0
	v_add_nc_u32_e32 v7, v8, v7
	s_or_b32 exec_lo, exec_lo, s17
	s_and_saveexec_b32 s17, s9
	s_cbranch_execz .LBB35_41
.LBB35_57:                              ;   in Loop: Header=BB35_31 Depth=1
	ds_load_b32 v8, v1 offset:8228
	s_wait_dscnt 0x0
	v_add_nc_u32_e32 v7, v8, v7
	s_or_b32 exec_lo, exec_lo, s17
	s_and_saveexec_b32 s17, s10
	s_cbranch_execz .LBB35_42
.LBB35_58:                              ;   in Loop: Header=BB35_31 Depth=1
	ds_load_b32 v8, v1 offset:8232
	s_wait_dscnt 0x0
	v_add_nc_u32_e32 v7, v8, v7
	s_or_b32 exec_lo, exec_lo, s17
	s_and_saveexec_b32 s17, s11
	s_cbranch_execz .LBB35_43
.LBB35_59:                              ;   in Loop: Header=BB35_31 Depth=1
	ds_load_b32 v8, v1 offset:8236
	s_wait_dscnt 0x0
	v_add_nc_u32_e32 v7, v8, v7
	s_or_b32 exec_lo, exec_lo, s17
	s_and_saveexec_b32 s17, s12
	s_cbranch_execz .LBB35_44
.LBB35_60:                              ;   in Loop: Header=BB35_31 Depth=1
	ds_load_b32 v8, v1 offset:8240
	s_wait_dscnt 0x0
	v_add_nc_u32_e32 v7, v8, v7
	s_or_b32 exec_lo, exec_lo, s17
	s_and_saveexec_b32 s17, s13
	s_cbranch_execz .LBB35_45
.LBB35_61:                              ;   in Loop: Header=BB35_31 Depth=1
	ds_load_b32 v8, v1 offset:8244
	s_wait_dscnt 0x0
	v_add_nc_u32_e32 v7, v8, v7
	s_or_b32 exec_lo, exec_lo, s17
	s_and_saveexec_b32 s17, s14
	s_cbranch_execz .LBB35_46
.LBB35_62:                              ;   in Loop: Header=BB35_31 Depth=1
	ds_load_b32 v8, v1 offset:8248
	s_wait_dscnt 0x0
	v_add_nc_u32_e32 v7, v8, v7
	s_or_b32 exec_lo, exec_lo, s17
	s_and_saveexec_b32 s17, s15
	s_cbranch_execz .LBB35_47
.LBB35_63:                              ;   in Loop: Header=BB35_31 Depth=1
	s_delay_alu instid0(VALU_DEP_1) | instskip(NEXT) | instid1(VALU_DEP_1)
	v_dual_lshlrev_b32 v8, 2, v5 :: v_dual_lshlrev_b32 v9, 2, v7
	v_add_nc_u32_e32 v8, 0, v8
	s_delay_alu instid0(VALU_DEP_1)
	v_add3_u32 v8, v8, v9, -4
	ds_store_b32 v8, v6
	s_or_b32 exec_lo, exec_lo, s17
	s_and_saveexec_b32 s15, vcc_lo
	s_cbranch_execz .LBB35_30
.LBB35_64:                              ;   in Loop: Header=BB35_31 Depth=1
	ds_store_b32 v1, v7 offset:8252
	s_branch .LBB35_30
.LBB35_65:
	s_or_b32 exec_lo, exec_lo, s16
	s_ashr_i32 s25, s24, 31
	s_delay_alu instid0(SALU_CYCLE_1) | instskip(NEXT) | instid1(SALU_CYCLE_1)
	s_lshl_b64 s[0:1], s[24:25], 3
	s_add_nc_u64 s[4:5], s[20:21], s[0:1]
	s_load_b128 s[0:3], s[4:5], 0x0
	s_wait_xcnt 0x0
	s_mov_b32 s4, exec_lo
	s_wait_kmcnt 0x0
	s_sub_co_i32 s3, s2, s0
	s_delay_alu instid0(SALU_CYCLE_1)
	v_cmpx_gt_i32_e64 s3, v0
	s_cbranch_execz .LBB35_75
; %bb.66:
	s_sub_co_i32 s4, s0, s2
	s_and_b32 s2, s3, 7
	s_cmp_lt_u32 s4, -7
	s_mov_b32 s19, 0
	s_cselect_b32 s4, -1, 0
	s_and_b32 s5, s3, -8
	s_cmp_lg_u32 s2, 0
	s_sub_nc_u64 s[0:1], s[0:1], s[18:19]
	s_cselect_b32 s6, -1, 0
	s_mov_b32 s7, 0
	s_branch .LBB35_68
.LBB35_67:                              ;   in Loop: Header=BB35_68 Depth=1
	v_add_nc_u32_e32 v0, 0x400, v0
	s_wait_dscnt 0x0
	v_add_nc_u32_e32 v1, s18, v1
	s_delay_alu instid0(VALU_DEP_3) | instskip(NEXT) | instid1(VALU_DEP_3)
	v_lshl_add_u64 v[2:3], v[2:3], 2, s[22:23]
	v_cmp_le_i32_e32 vcc_lo, s3, v0
	global_store_b32 v[2:3], v1, off
	s_or_b32 s7, vcc_lo, s7
	s_wait_xcnt 0x0
	s_and_not1_b32 exec_lo, exec_lo, s7
	s_cbranch_execz .LBB35_75
.LBB35_68:                              ; =>This Loop Header: Depth=1
                                        ;     Child Loop BB35_70 Depth 2
                                        ;     Child Loop BB35_74 Depth 2
	v_lshl_add_u32 v1, v0, 2, 0
	v_mov_b64_e32 v[2:3], s[0:1]
	s_and_not1_b32 vcc_lo, exec_lo, s4
	s_mov_b32 s8, 0
	ds_load_b32 v1, v1
	s_cbranch_vccnz .LBB35_72
; %bb.69:                               ;   in Loop: Header=BB35_68 Depth=1
	v_mov_b64_e32 v[2:3], s[0:1]
	s_mov_b32 s9, 0
.LBB35_70:                              ;   Parent Loop BB35_68 Depth=1
                                        ; =>  This Inner Loop Header: Depth=2
	s_delay_alu instid0(SALU_CYCLE_1)
	v_dual_mov_b32 v8, s9 :: v_dual_mov_b32 v9, s19
	v_mov_b32_e32 v15, s19
	s_add_co_i32 s8, s8, 8
	s_add_co_i32 s9, s9, 32
	ds_load_2addr_b32 v[4:5], v8 offset1:1
	ds_load_2addr_b32 v[6:7], v8 offset0:2 offset1:3
	ds_load_2addr_b32 v[10:11], v8 offset0:4 offset1:5
	;; [unrolled: 1-line block ×3, first 2 shown]
	s_cmp_eq_u32 s5, s8
	s_wait_dscnt 0x3
	v_cmp_gt_i32_e32 vcc_lo, v1, v4
	v_cndmask_b32_e64 v8, 0, 1, vcc_lo
	v_cmp_gt_i32_e32 vcc_lo, v1, v5
	v_mov_b32_e32 v5, s19
	s_delay_alu instid0(VALU_DEP_3) | instskip(SKIP_4) | instid1(VALU_DEP_3)
	v_add_nc_u64_e32 v[2:3], v[2:3], v[8:9]
	v_cndmask_b32_e64 v14, 0, 1, vcc_lo
	s_wait_dscnt 0x2
	v_cmp_gt_i32_e32 vcc_lo, v1, v6
	v_cndmask_b32_e64 v4, 0, 1, vcc_lo
	v_add_nc_u64_e32 v[2:3], v[2:3], v[14:15]
	v_cmp_gt_i32_e32 vcc_lo, v1, v7
	v_mov_b32_e32 v7, s19
	v_cndmask_b32_e64 v8, 0, 1, vcc_lo
	s_delay_alu instid0(VALU_DEP_4) | instskip(SKIP_3) | instid1(VALU_DEP_3)
	v_add_nc_u64_e32 v[2:3], v[2:3], v[4:5]
	s_wait_dscnt 0x1
	v_cmp_gt_i32_e32 vcc_lo, v1, v10
	v_cndmask_b32_e64 v4, 0, 1, vcc_lo
	v_add_nc_u64_e32 v[2:3], v[2:3], v[8:9]
	v_cmp_gt_i32_e32 vcc_lo, v1, v11
	v_cndmask_b32_e64 v6, 0, 1, vcc_lo
	s_delay_alu instid0(VALU_DEP_3) | instskip(SKIP_3) | instid1(VALU_DEP_3)
	v_add_nc_u64_e32 v[2:3], v[2:3], v[4:5]
	s_wait_dscnt 0x0
	v_cmp_gt_i32_e32 vcc_lo, v1, v12
	v_cndmask_b32_e64 v4, 0, 1, vcc_lo
	v_add_nc_u64_e32 v[2:3], v[2:3], v[6:7]
	v_cmp_gt_i32_e32 vcc_lo, v1, v13
	v_cndmask_b32_e64 v6, 0, 1, vcc_lo
	s_delay_alu instid0(VALU_DEP_3) | instskip(NEXT) | instid1(VALU_DEP_1)
	v_add_nc_u64_e32 v[2:3], v[2:3], v[4:5]
	v_add_nc_u64_e32 v[2:3], v[2:3], v[6:7]
	s_cbranch_scc0 .LBB35_70
; %bb.71:                               ;   in Loop: Header=BB35_68 Depth=1
	s_mov_b32 s8, s5
.LBB35_72:                              ;   in Loop: Header=BB35_68 Depth=1
	s_and_not1_b32 vcc_lo, exec_lo, s6
	s_cbranch_vccnz .LBB35_67
; %bb.73:                               ;   in Loop: Header=BB35_68 Depth=1
	s_lshl_b32 s8, s8, 2
	s_mov_b32 s9, s2
	s_add_co_i32 s8, s8, 0
.LBB35_74:                              ;   Parent Loop BB35_68 Depth=1
                                        ; =>  This Inner Loop Header: Depth=2
	s_delay_alu instid0(SALU_CYCLE_1)
	v_dual_mov_b32 v4, s8 :: v_dual_mov_b32 v5, s19
	s_add_co_i32 s9, s9, -1
	s_add_co_i32 s8, s8, 4
	s_cmp_lg_u32 s9, 0
	ds_load_b32 v4, v4
	s_wait_dscnt 0x0
	v_cmp_gt_i32_e32 vcc_lo, v1, v4
	v_cndmask_b32_e64 v4, 0, 1, vcc_lo
	s_delay_alu instid0(VALU_DEP_1)
	v_add_nc_u64_e32 v[2:3], v[2:3], v[4:5]
	s_cbranch_scc1 .LBB35_74
	s_branch .LBB35_67
.LBB35_75:
	s_endpgm
	.section	.rodata,"a",@progbits
	.p2align	6, 0x0
	.amdhsa_kernel _ZN9rocsparseL35csrgemm_symbolic_fill_block_per_rowILj1024ELj32ELj2048ELj137ELj64EliEEvT5_PKS1_S3_PKT4_S3_S6_S3_S6_S3_S6_PS1_21rocsparse_index_base_S8_S8_S8_bb
		.amdhsa_group_segment_fixed_size 0
		.amdhsa_private_segment_fixed_size 0
		.amdhsa_kernarg_size 108
		.amdhsa_user_sgpr_count 2
		.amdhsa_user_sgpr_dispatch_ptr 0
		.amdhsa_user_sgpr_queue_ptr 0
		.amdhsa_user_sgpr_kernarg_segment_ptr 1
		.amdhsa_user_sgpr_dispatch_id 0
		.amdhsa_user_sgpr_kernarg_preload_length 0
		.amdhsa_user_sgpr_kernarg_preload_offset 0
		.amdhsa_user_sgpr_private_segment_size 0
		.amdhsa_wavefront_size32 1
		.amdhsa_uses_dynamic_stack 0
		.amdhsa_enable_private_segment 0
		.amdhsa_system_sgpr_workgroup_id_x 1
		.amdhsa_system_sgpr_workgroup_id_y 0
		.amdhsa_system_sgpr_workgroup_id_z 0
		.amdhsa_system_sgpr_workgroup_info 0
		.amdhsa_system_vgpr_workitem_id 0
		.amdhsa_next_free_vgpr 16
		.amdhsa_next_free_sgpr 28
		.amdhsa_named_barrier_count 0
		.amdhsa_reserve_vcc 1
		.amdhsa_float_round_mode_32 0
		.amdhsa_float_round_mode_16_64 0
		.amdhsa_float_denorm_mode_32 3
		.amdhsa_float_denorm_mode_16_64 3
		.amdhsa_fp16_overflow 0
		.amdhsa_memory_ordered 1
		.amdhsa_forward_progress 1
		.amdhsa_inst_pref_size 22
		.amdhsa_round_robin_scheduling 0
		.amdhsa_exception_fp_ieee_invalid_op 0
		.amdhsa_exception_fp_denorm_src 0
		.amdhsa_exception_fp_ieee_div_zero 0
		.amdhsa_exception_fp_ieee_overflow 0
		.amdhsa_exception_fp_ieee_underflow 0
		.amdhsa_exception_fp_ieee_inexact 0
		.amdhsa_exception_int_div_zero 0
	.end_amdhsa_kernel
	.section	.text._ZN9rocsparseL35csrgemm_symbolic_fill_block_per_rowILj1024ELj32ELj2048ELj137ELj64EliEEvT5_PKS1_S3_PKT4_S3_S6_S3_S6_S3_S6_PS1_21rocsparse_index_base_S8_S8_S8_bb,"axG",@progbits,_ZN9rocsparseL35csrgemm_symbolic_fill_block_per_rowILj1024ELj32ELj2048ELj137ELj64EliEEvT5_PKS1_S3_PKT4_S3_S6_S3_S6_S3_S6_PS1_21rocsparse_index_base_S8_S8_S8_bb,comdat
.Lfunc_end35:
	.size	_ZN9rocsparseL35csrgemm_symbolic_fill_block_per_rowILj1024ELj32ELj2048ELj137ELj64EliEEvT5_PKS1_S3_PKT4_S3_S6_S3_S6_S3_S6_PS1_21rocsparse_index_base_S8_S8_S8_bb, .Lfunc_end35-_ZN9rocsparseL35csrgemm_symbolic_fill_block_per_rowILj1024ELj32ELj2048ELj137ELj64EliEEvT5_PKS1_S3_PKT4_S3_S6_S3_S6_S3_S6_PS1_21rocsparse_index_base_S8_S8_S8_bb
                                        ; -- End function
	.set _ZN9rocsparseL35csrgemm_symbolic_fill_block_per_rowILj1024ELj32ELj2048ELj137ELj64EliEEvT5_PKS1_S3_PKT4_S3_S6_S3_S6_S3_S6_PS1_21rocsparse_index_base_S8_S8_S8_bb.num_vgpr, 16
	.set _ZN9rocsparseL35csrgemm_symbolic_fill_block_per_rowILj1024ELj32ELj2048ELj137ELj64EliEEvT5_PKS1_S3_PKT4_S3_S6_S3_S6_S3_S6_PS1_21rocsparse_index_base_S8_S8_S8_bb.num_agpr, 0
	.set _ZN9rocsparseL35csrgemm_symbolic_fill_block_per_rowILj1024ELj32ELj2048ELj137ELj64EliEEvT5_PKS1_S3_PKT4_S3_S6_S3_S6_S3_S6_PS1_21rocsparse_index_base_S8_S8_S8_bb.numbered_sgpr, 28
	.set _ZN9rocsparseL35csrgemm_symbolic_fill_block_per_rowILj1024ELj32ELj2048ELj137ELj64EliEEvT5_PKS1_S3_PKT4_S3_S6_S3_S6_S3_S6_PS1_21rocsparse_index_base_S8_S8_S8_bb.num_named_barrier, 0
	.set _ZN9rocsparseL35csrgemm_symbolic_fill_block_per_rowILj1024ELj32ELj2048ELj137ELj64EliEEvT5_PKS1_S3_PKT4_S3_S6_S3_S6_S3_S6_PS1_21rocsparse_index_base_S8_S8_S8_bb.private_seg_size, 0
	.set _ZN9rocsparseL35csrgemm_symbolic_fill_block_per_rowILj1024ELj32ELj2048ELj137ELj64EliEEvT5_PKS1_S3_PKT4_S3_S6_S3_S6_S3_S6_PS1_21rocsparse_index_base_S8_S8_S8_bb.uses_vcc, 1
	.set _ZN9rocsparseL35csrgemm_symbolic_fill_block_per_rowILj1024ELj32ELj2048ELj137ELj64EliEEvT5_PKS1_S3_PKT4_S3_S6_S3_S6_S3_S6_PS1_21rocsparse_index_base_S8_S8_S8_bb.uses_flat_scratch, 0
	.set _ZN9rocsparseL35csrgemm_symbolic_fill_block_per_rowILj1024ELj32ELj2048ELj137ELj64EliEEvT5_PKS1_S3_PKT4_S3_S6_S3_S6_S3_S6_PS1_21rocsparse_index_base_S8_S8_S8_bb.has_dyn_sized_stack, 0
	.set _ZN9rocsparseL35csrgemm_symbolic_fill_block_per_rowILj1024ELj32ELj2048ELj137ELj64EliEEvT5_PKS1_S3_PKT4_S3_S6_S3_S6_S3_S6_PS1_21rocsparse_index_base_S8_S8_S8_bb.has_recursion, 0
	.set _ZN9rocsparseL35csrgemm_symbolic_fill_block_per_rowILj1024ELj32ELj2048ELj137ELj64EliEEvT5_PKS1_S3_PKT4_S3_S6_S3_S6_S3_S6_PS1_21rocsparse_index_base_S8_S8_S8_bb.has_indirect_call, 0
	.section	.AMDGPU.csdata,"",@progbits
; Kernel info:
; codeLenInByte = 2736
; TotalNumSgprs: 30
; NumVgprs: 16
; ScratchSize: 0
; MemoryBound: 0
; FloatMode: 240
; IeeeMode: 1
; LDSByteSize: 0 bytes/workgroup (compile time only)
; SGPRBlocks: 0
; VGPRBlocks: 0
; NumSGPRsForWavesPerEU: 30
; NumVGPRsForWavesPerEU: 16
; NamedBarCnt: 0
; Occupancy: 16
; WaveLimiterHint : 1
; COMPUTE_PGM_RSRC2:SCRATCH_EN: 0
; COMPUTE_PGM_RSRC2:USER_SGPR: 2
; COMPUTE_PGM_RSRC2:TRAP_HANDLER: 0
; COMPUTE_PGM_RSRC2:TGID_X_EN: 1
; COMPUTE_PGM_RSRC2:TGID_Y_EN: 0
; COMPUTE_PGM_RSRC2:TGID_Z_EN: 0
; COMPUTE_PGM_RSRC2:TIDIG_COMP_CNT: 0
	.section	.text._ZN9rocsparseL35csrgemm_symbolic_fill_block_per_rowILj1024ELj64ELj4096ELj137ELj32EliEEvT5_PKS1_S3_PKT4_S3_S6_S3_S6_S3_S6_PS1_21rocsparse_index_base_S8_S8_S8_bb,"axG",@progbits,_ZN9rocsparseL35csrgemm_symbolic_fill_block_per_rowILj1024ELj64ELj4096ELj137ELj32EliEEvT5_PKS1_S3_PKT4_S3_S6_S3_S6_S3_S6_PS1_21rocsparse_index_base_S8_S8_S8_bb,comdat
	.globl	_ZN9rocsparseL35csrgemm_symbolic_fill_block_per_rowILj1024ELj64ELj4096ELj137ELj32EliEEvT5_PKS1_S3_PKT4_S3_S6_S3_S6_S3_S6_PS1_21rocsparse_index_base_S8_S8_S8_bb ; -- Begin function _ZN9rocsparseL35csrgemm_symbolic_fill_block_per_rowILj1024ELj64ELj4096ELj137ELj32EliEEvT5_PKS1_S3_PKT4_S3_S6_S3_S6_S3_S6_PS1_21rocsparse_index_base_S8_S8_S8_bb
	.p2align	8
	.type	_ZN9rocsparseL35csrgemm_symbolic_fill_block_per_rowILj1024ELj64ELj4096ELj137ELj32EliEEvT5_PKS1_S3_PKT4_S3_S6_S3_S6_S3_S6_PS1_21rocsparse_index_base_S8_S8_S8_bb,@function
_ZN9rocsparseL35csrgemm_symbolic_fill_block_per_rowILj1024ELj64ELj4096ELj137ELj32EliEEvT5_PKS1_S3_PKT4_S3_S6_S3_S6_S3_S6_PS1_21rocsparse_index_base_S8_S8_S8_bb: ; @_ZN9rocsparseL35csrgemm_symbolic_fill_block_per_rowILj1024ELj64ELj4096ELj137ELj32EliEEvT5_PKS1_S3_PKT4_S3_S6_S3_S6_S3_S6_PS1_21rocsparse_index_base_S8_S8_S8_bb
; %bb.0:
	s_clause 0x1
	s_load_b32 s33, s[0:1], 0x0
	s_load_b128 s[4:7], s[0:1], 0x8
	v_lshl_add_u32 v10, v0, 2, 0
	s_bfe_u32 s3, ttmp6, 0x4000c
	s_load_b32 s12, s[0:1], 0x68
	s_add_co_i32 s3, s3, 1
	s_delay_alu instid0(SALU_CYCLE_1)
	s_mul_i32 s3, ttmp9, s3
	s_wait_kmcnt 0x0
	v_dual_mov_b32 v1, s33 :: v_dual_mov_b32 v2, s33
	v_dual_mov_b32 v3, s33 :: v_dual_mov_b32 v4, s33
	ds_store_2addr_stride64_b32 v10, v1, v2 offset1:16
	ds_store_2addr_stride64_b32 v10, v3, v4 offset0:32 offset1:48
	s_wait_dscnt 0x0
	s_barrier_signal -1
	s_barrier_wait -1
	s_load_b32 s2, s[4:5], 0x0
	s_wait_xcnt 0x0
	s_and_b32 s4, ttmp6, 15
	s_getreg_b32 s5, hwreg(HW_REG_IB_STS2, 6, 4)
	s_add_co_i32 s4, s4, s3
	s_cmp_eq_u32 s5, 0
	s_cselect_b32 s3, ttmp9, s4
	s_wait_kmcnt 0x0
	s_add_co_i32 s2, s2, s3
	s_load_b128 s[36:39], s[0:1], 0x58
	s_load_b32 s34, s[6:7], s2 offset:0x0 scale_offset
	s_bitcmp0_b32 s12, 0
	s_mov_b32 s3, 0
	s_cbranch_scc1 .LBB36_16
; %bb.1:
	s_load_b64 s[4:5], s[0:1], 0x18
	s_wait_kmcnt 0x0
	s_ashr_i32 s35, s34, 31
	v_dual_mov_b32 v5, 0 :: v_dual_lshrrev_b32 v4, 6, v0
	s_lshl_b64 s[6:7], s[34:35], 3
	s_mov_b32 s2, s36
	s_mov_b32 s13, exec_lo
	s_delay_alu instid0(VALU_DEP_1) | instskip(SKIP_3) | instid1(VALU_DEP_1)
	v_sub_nc_u64_e64 v[2:3], v[4:5], s[2:3]
	s_add_nc_u64 s[8:9], s[4:5], s[6:7]
	s_load_b128 s[4:7], s[8:9], 0x0
	s_wait_kmcnt 0x0
	v_add_nc_u64_e32 v[2:3], s[4:5], v[2:3]
	s_sub_nc_u64 s[2:3], s[6:7], s[2:3]
	s_delay_alu instid0(VALU_DEP_1) | instid1(SALU_CYCLE_1)
	v_cmpx_gt_i64_e64 s[2:3], v[2:3]
	s_cbranch_execz .LBB36_15
; %bb.2:
	s_clause 0x1
	s_load_b128 s[4:7], s[0:1], 0x20
	s_load_b64 s[8:9], s[0:1], 0x30
	v_and_b32_e32 v4, 63, v0
	s_mov_b32 s11, 0
	s_mov_b32 s10, s37
	;; [unrolled: 1-line block ×3, first 2 shown]
	s_delay_alu instid0(VALU_DEP_1)
	v_sub_nc_u64_e64 v[4:5], v[4:5], s[10:11]
	s_branch .LBB36_4
.LBB36_3:                               ;   in Loop: Header=BB36_4 Depth=1
	s_or_b32 exec_lo, exec_lo, s15
	v_add_nc_u64_e32 v[2:3], 16, v[2:3]
	s_delay_alu instid0(VALU_DEP_1) | instskip(SKIP_1) | instid1(SALU_CYCLE_1)
	v_cmp_le_i64_e32 vcc_lo, s[2:3], v[2:3]
	s_or_b32 s14, vcc_lo, s14
	s_and_not1_b32 exec_lo, exec_lo, s14
	s_cbranch_execz .LBB36_15
.LBB36_4:                               ; =>This Loop Header: Depth=1
                                        ;     Child Loop BB36_7 Depth 2
                                        ;       Child Loop BB36_10 Depth 3
	s_wait_kmcnt 0x0
	v_lshl_add_u64 v[6:7], v[2:3], 2, s[4:5]
	s_mov_b32 s15, exec_lo
	global_load_b32 v1, v[6:7], off
	s_wait_loadcnt 0x0
	v_subrev_nc_u32_e32 v6, s36, v1
	s_delay_alu instid0(VALU_DEP_1) | instskip(NEXT) | instid1(VALU_DEP_1)
	v_ashrrev_i32_e32 v7, 31, v6
	v_lshl_add_u64 v[6:7], v[6:7], 3, s[6:7]
	global_load_b128 v[12:15], v[6:7], off
	s_wait_loadcnt 0x0
	v_sub_nc_u64_e64 v[6:7], v[14:15], s[10:11]
	v_add_nc_u64_e32 v[8:9], v[12:13], v[4:5]
	s_delay_alu instid0(VALU_DEP_1)
	v_cmpx_lt_i64_e64 v[8:9], v[6:7]
	s_cbranch_execz .LBB36_3
; %bb.5:                                ;   in Loop: Header=BB36_4 Depth=1
	s_mov_b32 s16, 0
	s_branch .LBB36_7
.LBB36_6:                               ;   in Loop: Header=BB36_7 Depth=2
	s_or_b32 exec_lo, exec_lo, s17
	v_add_nc_u64_e32 v[8:9], 64, v[8:9]
	s_delay_alu instid0(VALU_DEP_1) | instskip(SKIP_1) | instid1(SALU_CYCLE_1)
	v_cmp_ge_i64_e32 vcc_lo, v[8:9], v[6:7]
	s_or_b32 s16, vcc_lo, s16
	s_and_not1_b32 exec_lo, exec_lo, s16
	s_cbranch_execz .LBB36_3
.LBB36_7:                               ;   Parent Loop BB36_4 Depth=1
                                        ; =>  This Loop Header: Depth=2
                                        ;       Child Loop BB36_10 Depth 3
	v_lshl_add_u64 v[12:13], v[8:9], 2, s[8:9]
	s_mov_b32 s17, 0
                                        ; implicit-def: $sgpr18
	global_load_b32 v1, v[12:13], off
	s_wait_loadcnt 0x0
	v_subrev_nc_u32_e32 v1, s37, v1
	s_delay_alu instid0(VALU_DEP_1) | instskip(NEXT) | instid1(VALU_DEP_1)
	v_mul_lo_u32 v11, 0x89, v1
	v_and_b32_e32 v11, 0xfff, v11
	s_branch .LBB36_10
.LBB36_8:                               ;   in Loop: Header=BB36_10 Depth=3
	s_or_b32 exec_lo, exec_lo, s20
	s_delay_alu instid0(SALU_CYCLE_1) | instskip(SKIP_1) | instid1(SALU_CYCLE_1)
	s_and_not1_b32 s18, s18, exec_lo
	s_and_b32 s20, s21, exec_lo
	s_or_b32 s18, s18, s20
.LBB36_9:                               ;   in Loop: Header=BB36_10 Depth=3
	s_or_b32 exec_lo, exec_lo, s19
	s_xor_b32 s19, s18, -1
	s_delay_alu instid0(SALU_CYCLE_1) | instskip(NEXT) | instid1(SALU_CYCLE_1)
	s_and_b32 s19, exec_lo, s19
	s_or_b32 s17, s19, s17
	s_delay_alu instid0(SALU_CYCLE_1)
	s_and_not1_b32 exec_lo, exec_lo, s17
	s_cbranch_execz .LBB36_6
.LBB36_10:                              ;   Parent Loop BB36_4 Depth=1
                                        ;     Parent Loop BB36_7 Depth=2
                                        ; =>    This Inner Loop Header: Depth=3
	s_delay_alu instid0(VALU_DEP_1)
	v_lshl_add_u32 v12, v11, 2, 0
	s_and_not1_b32 s18, s18, exec_lo
	s_mov_b32 s19, exec_lo
	ds_load_b32 v13, v12
	s_wait_dscnt 0x0
	v_cmpx_ne_u32_e64 v13, v1
	s_cbranch_execz .LBB36_9
; %bb.11:                               ;   in Loop: Header=BB36_10 Depth=3
	s_mov_b32 s20, exec_lo
	v_cmpx_ne_u32_e64 s33, v13
	s_xor_b32 s20, exec_lo, s20
; %bb.12:                               ;   in Loop: Header=BB36_10 Depth=3
	v_add_nc_u32_e32 v11, 1, v11
                                        ; implicit-def: $vgpr12
	s_delay_alu instid0(VALU_DEP_1)
	v_and_b32_e32 v11, 0xfff, v11
; %bb.13:                               ;   in Loop: Header=BB36_10 Depth=3
	s_or_saveexec_b32 s20, s20
	s_mov_b32 s21, -1
	s_xor_b32 exec_lo, exec_lo, s20
	s_cbranch_execz .LBB36_8
; %bb.14:                               ;   in Loop: Header=BB36_10 Depth=3
	v_mov_b32_e32 v13, s33
	ds_cmpstore_rtn_b32 v12, v12, v1, v13
	s_wait_dscnt 0x0
	v_cmp_ne_u32_e32 vcc_lo, s33, v12
	s_or_not1_b32 s21, vcc_lo, exec_lo
	s_branch .LBB36_8
.LBB36_15:
	s_or_b32 exec_lo, exec_lo, s13
.LBB36_16:
	s_wait_xcnt 0x0
	s_bfe_u32 s2, s12, 0x10008
	s_delay_alu instid0(SALU_CYCLE_1)
	s_cmp_eq_u32 s2, 0
	s_cbranch_scc1 .LBB36_29
; %bb.17:
	s_load_b64 s[2:3], s[0:1], 0x38
	s_wait_kmcnt 0x0
	s_ashr_i32 s35, s34, 31
	v_mov_b32_e32 v1, 0
	s_lshl_b64 s[4:5], s[34:35], 3
	s_delay_alu instid0(SALU_CYCLE_1) | instskip(SKIP_4) | instid1(SALU_CYCLE_1)
	s_add_nc_u64 s[2:3], s[2:3], s[4:5]
	s_load_b128 s[4:7], s[2:3], 0x0
	s_wait_xcnt 0x0
	s_mov_b32 s3, 0
	s_mov_b32 s2, s39
	v_sub_nc_u64_e64 v[2:3], v[0:1], s[2:3]
	s_wait_kmcnt 0x0
	s_delay_alu instid0(VALU_DEP_1) | instskip(SKIP_2) | instid1(VALU_DEP_1)
	v_add_nc_u64_e32 v[2:3], s[4:5], v[2:3]
	s_sub_nc_u64 s[4:5], s[6:7], s[2:3]
	s_mov_b32 s2, exec_lo
	v_cmpx_gt_i64_e64 s[4:5], v[2:3]
	s_cbranch_execz .LBB36_28
; %bb.18:
	s_load_b64 s[6:7], s[0:1], 0x40
	s_branch .LBB36_20
.LBB36_19:                              ;   in Loop: Header=BB36_20 Depth=1
	s_or_b32 exec_lo, exec_lo, s8
	v_add_nc_u64_e32 v[2:3], 0x400, v[2:3]
	s_delay_alu instid0(VALU_DEP_1) | instskip(SKIP_1) | instid1(SALU_CYCLE_1)
	v_cmp_le_i64_e32 vcc_lo, s[4:5], v[2:3]
	s_or_b32 s3, vcc_lo, s3
	s_and_not1_b32 exec_lo, exec_lo, s3
	s_cbranch_execz .LBB36_28
.LBB36_20:                              ; =>This Loop Header: Depth=1
                                        ;     Child Loop BB36_23 Depth 2
	s_wait_kmcnt 0x0
	v_lshl_add_u64 v[4:5], v[2:3], 2, s[6:7]
	s_mov_b32 s8, 0
                                        ; implicit-def: $sgpr9
	global_load_b32 v1, v[4:5], off
	s_wait_loadcnt 0x0
	v_subrev_nc_u32_e32 v1, s39, v1
	s_delay_alu instid0(VALU_DEP_1) | instskip(NEXT) | instid1(VALU_DEP_1)
	v_mul_lo_u32 v4, 0x89, v1
	v_and_b32_e32 v4, 0xfff, v4
	s_branch .LBB36_23
.LBB36_21:                              ;   in Loop: Header=BB36_23 Depth=2
	s_or_b32 exec_lo, exec_lo, s11
	s_delay_alu instid0(SALU_CYCLE_1) | instskip(SKIP_1) | instid1(SALU_CYCLE_1)
	s_and_not1_b32 s9, s9, exec_lo
	s_and_b32 s11, s12, exec_lo
	s_or_b32 s9, s9, s11
.LBB36_22:                              ;   in Loop: Header=BB36_23 Depth=2
	s_or_b32 exec_lo, exec_lo, s10
	s_xor_b32 s10, s9, -1
	s_delay_alu instid0(SALU_CYCLE_1) | instskip(NEXT) | instid1(SALU_CYCLE_1)
	s_and_b32 s10, exec_lo, s10
	s_or_b32 s8, s10, s8
	s_delay_alu instid0(SALU_CYCLE_1)
	s_and_not1_b32 exec_lo, exec_lo, s8
	s_cbranch_execz .LBB36_19
.LBB36_23:                              ;   Parent Loop BB36_20 Depth=1
                                        ; =>  This Inner Loop Header: Depth=2
	s_delay_alu instid0(VALU_DEP_1)
	v_lshl_add_u32 v5, v4, 2, 0
	s_and_not1_b32 s9, s9, exec_lo
	s_mov_b32 s10, exec_lo
	ds_load_b32 v6, v5
	s_wait_dscnt 0x0
	v_cmpx_ne_u32_e64 v6, v1
	s_cbranch_execz .LBB36_22
; %bb.24:                               ;   in Loop: Header=BB36_23 Depth=2
	s_mov_b32 s11, exec_lo
	v_cmpx_ne_u32_e64 s33, v6
	s_xor_b32 s11, exec_lo, s11
; %bb.25:                               ;   in Loop: Header=BB36_23 Depth=2
	v_add_nc_u32_e32 v4, 1, v4
                                        ; implicit-def: $vgpr5
	s_delay_alu instid0(VALU_DEP_1)
	v_and_b32_e32 v4, 0xfff, v4
; %bb.26:                               ;   in Loop: Header=BB36_23 Depth=2
	s_or_saveexec_b32 s11, s11
	s_mov_b32 s12, -1
	s_xor_b32 exec_lo, exec_lo, s11
	s_cbranch_execz .LBB36_21
; %bb.27:                               ;   in Loop: Header=BB36_23 Depth=2
	v_mov_b32_e32 v6, s33
	ds_cmpstore_rtn_b32 v5, v5, v1, v6
	s_wait_dscnt 0x0
	v_cmp_ne_u32_e32 vcc_lo, s33, v5
	s_or_not1_b32 s12, vcc_lo, exec_lo
	s_branch .LBB36_21
.LBB36_28:
	s_or_b32 exec_lo, exec_lo, s2
.LBB36_29:
	s_load_b128 s[40:43], s[0:1], 0x48
	v_mbcnt_lo_u32_b32 v1, -1, 0
	v_lshrrev_b32_e32 v2, 3, v0
	s_wait_xcnt 0x0
	v_cmp_lt_u32_e64 s0, 31, v0
	v_cmp_lt_u32_e64 s1, 63, v0
	v_cmp_lt_u32_e64 s2, 0x5f, v0
	v_xor_b32_e32 v3, 31, v1
	v_and_b32_e32 v4, 0x7c, v2
	v_mov_b32_e32 v1, 0
	v_cmp_lt_u32_e64 s3, 0x7f, v0
	v_cmp_lt_u32_e64 s4, 0x9f, v0
	v_lshrrev_b32_e64 v2, v3, -1
	v_add_nc_u32_e32 v3, 0, v4
	v_cmp_lt_u32_e64 s5, 0xbf, v0
	v_cmp_lt_u32_e64 s6, 0xdf, v0
	;; [unrolled: 1-line block ×26, first 2 shown]
	v_or_b32_e32 v4, 0xfffffc00, v0
	v_mov_b32_e32 v5, 0
	s_mov_b32 s35, 0
	v_cmp_eq_u32_e32 vcc_lo, 0x3ff, v0
	s_barrier_signal -1
	s_barrier_wait -1
	s_branch .LBB36_31
.LBB36_30:                              ;   in Loop: Header=BB36_31 Depth=1
	s_or_b32 exec_lo, exec_lo, s31
	s_wait_dscnt 0x0
	s_barrier_signal -1
	s_barrier_wait -1
	ds_load_b32 v6, v1 offset:16508
	v_add_nc_u32_e32 v4, 0x400, v4
	v_add_nc_u32_e32 v10, 0x1000, v10
	s_delay_alu instid0(VALU_DEP_2)
	v_cmp_lt_u32_e64 s31, 0xbff, v4
	s_or_b32 s35, s31, s35
	s_wait_dscnt 0x0
	v_add_nc_u32_e32 v5, v6, v5
	s_and_not1_b32 exec_lo, exec_lo, s35
	s_cbranch_execz .LBB36_97
.LBB36_31:                              ; =>This Inner Loop Header: Depth=1
	ds_load_b32 v6, v10
	s_wait_dscnt 0x0
	s_barrier_signal -1
	s_barrier_wait -1
	v_cmp_gt_i32_e64 s31, s33, v6
	s_wait_kmcnt 0x0
	s_bcnt1_i32_b32 s36, s31
	s_delay_alu instid0(SALU_CYCLE_1) | instskip(NEXT) | instid1(VALU_DEP_1)
	v_dual_mov_b32 v8, s36 :: v_dual_bitop2_b32 v7, s31, v2 bitop3:0x40
	v_bcnt_u32_b32 v7, v7, 0
	ds_store_b32 v3, v8 offset:16384
	s_wait_dscnt 0x0
	s_barrier_signal -1
	s_barrier_wait -1
	s_and_saveexec_b32 s36, s0
	s_cbranch_execnz .LBB36_64
; %bb.32:                               ;   in Loop: Header=BB36_31 Depth=1
	s_or_b32 exec_lo, exec_lo, s36
	s_and_saveexec_b32 s36, s1
	s_cbranch_execnz .LBB36_65
.LBB36_33:                              ;   in Loop: Header=BB36_31 Depth=1
	s_or_b32 exec_lo, exec_lo, s36
	s_and_saveexec_b32 s36, s2
	s_cbranch_execnz .LBB36_66
.LBB36_34:                              ;   in Loop: Header=BB36_31 Depth=1
	s_or_b32 exec_lo, exec_lo, s36
	s_and_saveexec_b32 s36, s3
	s_cbranch_execnz .LBB36_67
.LBB36_35:                              ;   in Loop: Header=BB36_31 Depth=1
	s_or_b32 exec_lo, exec_lo, s36
	s_and_saveexec_b32 s36, s4
	s_cbranch_execnz .LBB36_68
.LBB36_36:                              ;   in Loop: Header=BB36_31 Depth=1
	s_or_b32 exec_lo, exec_lo, s36
	s_and_saveexec_b32 s36, s5
	s_cbranch_execnz .LBB36_69
.LBB36_37:                              ;   in Loop: Header=BB36_31 Depth=1
	s_or_b32 exec_lo, exec_lo, s36
	s_and_saveexec_b32 s36, s6
	s_cbranch_execnz .LBB36_70
.LBB36_38:                              ;   in Loop: Header=BB36_31 Depth=1
	s_or_b32 exec_lo, exec_lo, s36
	s_and_saveexec_b32 s36, s7
	s_cbranch_execnz .LBB36_71
.LBB36_39:                              ;   in Loop: Header=BB36_31 Depth=1
	s_or_b32 exec_lo, exec_lo, s36
	s_and_saveexec_b32 s36, s8
	s_cbranch_execnz .LBB36_72
.LBB36_40:                              ;   in Loop: Header=BB36_31 Depth=1
	s_or_b32 exec_lo, exec_lo, s36
	s_and_saveexec_b32 s36, s9
	s_cbranch_execnz .LBB36_73
.LBB36_41:                              ;   in Loop: Header=BB36_31 Depth=1
	s_or_b32 exec_lo, exec_lo, s36
	s_and_saveexec_b32 s36, s10
	s_cbranch_execnz .LBB36_74
.LBB36_42:                              ;   in Loop: Header=BB36_31 Depth=1
	s_or_b32 exec_lo, exec_lo, s36
	s_and_saveexec_b32 s36, s11
	s_cbranch_execnz .LBB36_75
.LBB36_43:                              ;   in Loop: Header=BB36_31 Depth=1
	s_or_b32 exec_lo, exec_lo, s36
	s_and_saveexec_b32 s36, s12
	s_cbranch_execnz .LBB36_76
.LBB36_44:                              ;   in Loop: Header=BB36_31 Depth=1
	s_or_b32 exec_lo, exec_lo, s36
	s_and_saveexec_b32 s36, s13
	s_cbranch_execnz .LBB36_77
.LBB36_45:                              ;   in Loop: Header=BB36_31 Depth=1
	s_or_b32 exec_lo, exec_lo, s36
	s_and_saveexec_b32 s36, s14
	s_cbranch_execnz .LBB36_78
.LBB36_46:                              ;   in Loop: Header=BB36_31 Depth=1
	s_or_b32 exec_lo, exec_lo, s36
	s_and_saveexec_b32 s36, s15
	s_cbranch_execnz .LBB36_79
.LBB36_47:                              ;   in Loop: Header=BB36_31 Depth=1
	s_or_b32 exec_lo, exec_lo, s36
	s_and_saveexec_b32 s36, s16
	s_cbranch_execnz .LBB36_80
.LBB36_48:                              ;   in Loop: Header=BB36_31 Depth=1
	s_or_b32 exec_lo, exec_lo, s36
	s_and_saveexec_b32 s36, s17
	s_cbranch_execnz .LBB36_81
.LBB36_49:                              ;   in Loop: Header=BB36_31 Depth=1
	s_or_b32 exec_lo, exec_lo, s36
	s_and_saveexec_b32 s36, s18
	s_cbranch_execnz .LBB36_82
.LBB36_50:                              ;   in Loop: Header=BB36_31 Depth=1
	s_or_b32 exec_lo, exec_lo, s36
	s_and_saveexec_b32 s36, s19
	s_cbranch_execnz .LBB36_83
.LBB36_51:                              ;   in Loop: Header=BB36_31 Depth=1
	s_or_b32 exec_lo, exec_lo, s36
	s_and_saveexec_b32 s36, s20
	s_cbranch_execnz .LBB36_84
.LBB36_52:                              ;   in Loop: Header=BB36_31 Depth=1
	s_or_b32 exec_lo, exec_lo, s36
	s_and_saveexec_b32 s36, s21
	s_cbranch_execnz .LBB36_85
.LBB36_53:                              ;   in Loop: Header=BB36_31 Depth=1
	s_or_b32 exec_lo, exec_lo, s36
	s_and_saveexec_b32 s36, s22
	s_cbranch_execnz .LBB36_86
.LBB36_54:                              ;   in Loop: Header=BB36_31 Depth=1
	s_or_b32 exec_lo, exec_lo, s36
	s_and_saveexec_b32 s36, s23
	s_cbranch_execnz .LBB36_87
.LBB36_55:                              ;   in Loop: Header=BB36_31 Depth=1
	s_or_b32 exec_lo, exec_lo, s36
	s_and_saveexec_b32 s36, s24
	s_cbranch_execnz .LBB36_88
.LBB36_56:                              ;   in Loop: Header=BB36_31 Depth=1
	s_or_b32 exec_lo, exec_lo, s36
	s_and_saveexec_b32 s36, s25
	s_cbranch_execnz .LBB36_89
.LBB36_57:                              ;   in Loop: Header=BB36_31 Depth=1
	s_or_b32 exec_lo, exec_lo, s36
	s_and_saveexec_b32 s36, s26
	s_cbranch_execnz .LBB36_90
.LBB36_58:                              ;   in Loop: Header=BB36_31 Depth=1
	s_or_b32 exec_lo, exec_lo, s36
	s_and_saveexec_b32 s36, s27
	s_cbranch_execnz .LBB36_91
.LBB36_59:                              ;   in Loop: Header=BB36_31 Depth=1
	s_or_b32 exec_lo, exec_lo, s36
	s_and_saveexec_b32 s36, s28
	s_cbranch_execnz .LBB36_92
.LBB36_60:                              ;   in Loop: Header=BB36_31 Depth=1
	s_or_b32 exec_lo, exec_lo, s36
	s_and_saveexec_b32 s36, s29
	s_cbranch_execnz .LBB36_93
.LBB36_61:                              ;   in Loop: Header=BB36_31 Depth=1
	s_or_b32 exec_lo, exec_lo, s36
	s_and_saveexec_b32 s36, s30
	s_cbranch_execnz .LBB36_94
.LBB36_62:                              ;   in Loop: Header=BB36_31 Depth=1
	s_or_b32 exec_lo, exec_lo, s36
	s_and_saveexec_b32 s36, s31
	s_cbranch_execnz .LBB36_95
.LBB36_63:                              ;   in Loop: Header=BB36_31 Depth=1
	s_or_b32 exec_lo, exec_lo, s36
	s_and_saveexec_b32 s31, vcc_lo
	s_cbranch_execz .LBB36_30
	s_branch .LBB36_96
.LBB36_64:                              ;   in Loop: Header=BB36_31 Depth=1
	ds_load_b32 v8, v1 offset:16384
	s_wait_dscnt 0x0
	v_add_nc_u32_e32 v7, v8, v7
	s_or_b32 exec_lo, exec_lo, s36
	s_and_saveexec_b32 s36, s1
	s_cbranch_execz .LBB36_33
.LBB36_65:                              ;   in Loop: Header=BB36_31 Depth=1
	ds_load_b32 v8, v1 offset:16388
	s_wait_dscnt 0x0
	v_add_nc_u32_e32 v7, v8, v7
	s_or_b32 exec_lo, exec_lo, s36
	s_and_saveexec_b32 s36, s2
	s_cbranch_execz .LBB36_34
.LBB36_66:                              ;   in Loop: Header=BB36_31 Depth=1
	ds_load_b32 v8, v1 offset:16392
	s_wait_dscnt 0x0
	v_add_nc_u32_e32 v7, v8, v7
	s_or_b32 exec_lo, exec_lo, s36
	s_and_saveexec_b32 s36, s3
	s_cbranch_execz .LBB36_35
.LBB36_67:                              ;   in Loop: Header=BB36_31 Depth=1
	ds_load_b32 v8, v1 offset:16396
	s_wait_dscnt 0x0
	v_add_nc_u32_e32 v7, v8, v7
	s_or_b32 exec_lo, exec_lo, s36
	s_and_saveexec_b32 s36, s4
	s_cbranch_execz .LBB36_36
.LBB36_68:                              ;   in Loop: Header=BB36_31 Depth=1
	ds_load_b32 v8, v1 offset:16400
	s_wait_dscnt 0x0
	v_add_nc_u32_e32 v7, v8, v7
	s_or_b32 exec_lo, exec_lo, s36
	s_and_saveexec_b32 s36, s5
	s_cbranch_execz .LBB36_37
.LBB36_69:                              ;   in Loop: Header=BB36_31 Depth=1
	ds_load_b32 v8, v1 offset:16404
	s_wait_dscnt 0x0
	v_add_nc_u32_e32 v7, v8, v7
	s_or_b32 exec_lo, exec_lo, s36
	s_and_saveexec_b32 s36, s6
	s_cbranch_execz .LBB36_38
.LBB36_70:                              ;   in Loop: Header=BB36_31 Depth=1
	ds_load_b32 v8, v1 offset:16408
	s_wait_dscnt 0x0
	v_add_nc_u32_e32 v7, v8, v7
	s_or_b32 exec_lo, exec_lo, s36
	s_and_saveexec_b32 s36, s7
	s_cbranch_execz .LBB36_39
.LBB36_71:                              ;   in Loop: Header=BB36_31 Depth=1
	ds_load_b32 v8, v1 offset:16412
	s_wait_dscnt 0x0
	v_add_nc_u32_e32 v7, v8, v7
	s_or_b32 exec_lo, exec_lo, s36
	s_and_saveexec_b32 s36, s8
	s_cbranch_execz .LBB36_40
.LBB36_72:                              ;   in Loop: Header=BB36_31 Depth=1
	ds_load_b32 v8, v1 offset:16416
	s_wait_dscnt 0x0
	v_add_nc_u32_e32 v7, v8, v7
	s_or_b32 exec_lo, exec_lo, s36
	s_and_saveexec_b32 s36, s9
	s_cbranch_execz .LBB36_41
.LBB36_73:                              ;   in Loop: Header=BB36_31 Depth=1
	ds_load_b32 v8, v1 offset:16420
	s_wait_dscnt 0x0
	v_add_nc_u32_e32 v7, v8, v7
	s_or_b32 exec_lo, exec_lo, s36
	s_and_saveexec_b32 s36, s10
	s_cbranch_execz .LBB36_42
.LBB36_74:                              ;   in Loop: Header=BB36_31 Depth=1
	ds_load_b32 v8, v1 offset:16424
	s_wait_dscnt 0x0
	v_add_nc_u32_e32 v7, v8, v7
	s_or_b32 exec_lo, exec_lo, s36
	s_and_saveexec_b32 s36, s11
	s_cbranch_execz .LBB36_43
.LBB36_75:                              ;   in Loop: Header=BB36_31 Depth=1
	ds_load_b32 v8, v1 offset:16428
	s_wait_dscnt 0x0
	v_add_nc_u32_e32 v7, v8, v7
	s_or_b32 exec_lo, exec_lo, s36
	s_and_saveexec_b32 s36, s12
	s_cbranch_execz .LBB36_44
.LBB36_76:                              ;   in Loop: Header=BB36_31 Depth=1
	ds_load_b32 v8, v1 offset:16432
	s_wait_dscnt 0x0
	v_add_nc_u32_e32 v7, v8, v7
	s_or_b32 exec_lo, exec_lo, s36
	s_and_saveexec_b32 s36, s13
	s_cbranch_execz .LBB36_45
.LBB36_77:                              ;   in Loop: Header=BB36_31 Depth=1
	ds_load_b32 v8, v1 offset:16436
	s_wait_dscnt 0x0
	v_add_nc_u32_e32 v7, v8, v7
	s_or_b32 exec_lo, exec_lo, s36
	s_and_saveexec_b32 s36, s14
	s_cbranch_execz .LBB36_46
.LBB36_78:                              ;   in Loop: Header=BB36_31 Depth=1
	ds_load_b32 v8, v1 offset:16440
	s_wait_dscnt 0x0
	v_add_nc_u32_e32 v7, v8, v7
	s_or_b32 exec_lo, exec_lo, s36
	s_and_saveexec_b32 s36, s15
	s_cbranch_execz .LBB36_47
.LBB36_79:                              ;   in Loop: Header=BB36_31 Depth=1
	ds_load_b32 v8, v1 offset:16444
	s_wait_dscnt 0x0
	v_add_nc_u32_e32 v7, v8, v7
	s_or_b32 exec_lo, exec_lo, s36
	s_and_saveexec_b32 s36, s16
	s_cbranch_execz .LBB36_48
.LBB36_80:                              ;   in Loop: Header=BB36_31 Depth=1
	ds_load_b32 v8, v1 offset:16448
	s_wait_dscnt 0x0
	v_add_nc_u32_e32 v7, v8, v7
	s_or_b32 exec_lo, exec_lo, s36
	s_and_saveexec_b32 s36, s17
	s_cbranch_execz .LBB36_49
.LBB36_81:                              ;   in Loop: Header=BB36_31 Depth=1
	ds_load_b32 v8, v1 offset:16452
	s_wait_dscnt 0x0
	v_add_nc_u32_e32 v7, v8, v7
	s_or_b32 exec_lo, exec_lo, s36
	s_and_saveexec_b32 s36, s18
	s_cbranch_execz .LBB36_50
.LBB36_82:                              ;   in Loop: Header=BB36_31 Depth=1
	ds_load_b32 v8, v1 offset:16456
	s_wait_dscnt 0x0
	v_add_nc_u32_e32 v7, v8, v7
	s_or_b32 exec_lo, exec_lo, s36
	s_and_saveexec_b32 s36, s19
	s_cbranch_execz .LBB36_51
.LBB36_83:                              ;   in Loop: Header=BB36_31 Depth=1
	ds_load_b32 v8, v1 offset:16460
	s_wait_dscnt 0x0
	v_add_nc_u32_e32 v7, v8, v7
	s_or_b32 exec_lo, exec_lo, s36
	s_and_saveexec_b32 s36, s20
	s_cbranch_execz .LBB36_52
.LBB36_84:                              ;   in Loop: Header=BB36_31 Depth=1
	ds_load_b32 v8, v1 offset:16464
	s_wait_dscnt 0x0
	v_add_nc_u32_e32 v7, v8, v7
	s_or_b32 exec_lo, exec_lo, s36
	s_and_saveexec_b32 s36, s21
	s_cbranch_execz .LBB36_53
.LBB36_85:                              ;   in Loop: Header=BB36_31 Depth=1
	ds_load_b32 v8, v1 offset:16468
	s_wait_dscnt 0x0
	v_add_nc_u32_e32 v7, v8, v7
	s_or_b32 exec_lo, exec_lo, s36
	s_and_saveexec_b32 s36, s22
	s_cbranch_execz .LBB36_54
.LBB36_86:                              ;   in Loop: Header=BB36_31 Depth=1
	ds_load_b32 v8, v1 offset:16472
	s_wait_dscnt 0x0
	v_add_nc_u32_e32 v7, v8, v7
	s_or_b32 exec_lo, exec_lo, s36
	s_and_saveexec_b32 s36, s23
	s_cbranch_execz .LBB36_55
.LBB36_87:                              ;   in Loop: Header=BB36_31 Depth=1
	ds_load_b32 v8, v1 offset:16476
	s_wait_dscnt 0x0
	v_add_nc_u32_e32 v7, v8, v7
	s_or_b32 exec_lo, exec_lo, s36
	s_and_saveexec_b32 s36, s24
	s_cbranch_execz .LBB36_56
.LBB36_88:                              ;   in Loop: Header=BB36_31 Depth=1
	ds_load_b32 v8, v1 offset:16480
	s_wait_dscnt 0x0
	v_add_nc_u32_e32 v7, v8, v7
	s_or_b32 exec_lo, exec_lo, s36
	s_and_saveexec_b32 s36, s25
	s_cbranch_execz .LBB36_57
.LBB36_89:                              ;   in Loop: Header=BB36_31 Depth=1
	ds_load_b32 v8, v1 offset:16484
	s_wait_dscnt 0x0
	v_add_nc_u32_e32 v7, v8, v7
	s_or_b32 exec_lo, exec_lo, s36
	s_and_saveexec_b32 s36, s26
	s_cbranch_execz .LBB36_58
.LBB36_90:                              ;   in Loop: Header=BB36_31 Depth=1
	ds_load_b32 v8, v1 offset:16488
	s_wait_dscnt 0x0
	v_add_nc_u32_e32 v7, v8, v7
	s_or_b32 exec_lo, exec_lo, s36
	s_and_saveexec_b32 s36, s27
	s_cbranch_execz .LBB36_59
.LBB36_91:                              ;   in Loop: Header=BB36_31 Depth=1
	ds_load_b32 v8, v1 offset:16492
	s_wait_dscnt 0x0
	v_add_nc_u32_e32 v7, v8, v7
	s_or_b32 exec_lo, exec_lo, s36
	s_and_saveexec_b32 s36, s28
	s_cbranch_execz .LBB36_60
.LBB36_92:                              ;   in Loop: Header=BB36_31 Depth=1
	ds_load_b32 v8, v1 offset:16496
	s_wait_dscnt 0x0
	v_add_nc_u32_e32 v7, v8, v7
	s_or_b32 exec_lo, exec_lo, s36
	s_and_saveexec_b32 s36, s29
	s_cbranch_execz .LBB36_61
.LBB36_93:                              ;   in Loop: Header=BB36_31 Depth=1
	ds_load_b32 v8, v1 offset:16500
	s_wait_dscnt 0x0
	v_add_nc_u32_e32 v7, v8, v7
	s_or_b32 exec_lo, exec_lo, s36
	s_and_saveexec_b32 s36, s30
	s_cbranch_execz .LBB36_62
.LBB36_94:                              ;   in Loop: Header=BB36_31 Depth=1
	ds_load_b32 v8, v1 offset:16504
	s_wait_dscnt 0x0
	v_add_nc_u32_e32 v7, v8, v7
	s_or_b32 exec_lo, exec_lo, s36
	s_and_saveexec_b32 s36, s31
	s_cbranch_execz .LBB36_63
.LBB36_95:                              ;   in Loop: Header=BB36_31 Depth=1
	s_delay_alu instid0(VALU_DEP_1) | instskip(NEXT) | instid1(VALU_DEP_1)
	v_dual_lshlrev_b32 v8, 2, v5 :: v_dual_lshlrev_b32 v9, 2, v7
	v_add_nc_u32_e32 v8, 0, v8
	s_delay_alu instid0(VALU_DEP_1)
	v_add3_u32 v8, v8, v9, -4
	ds_store_b32 v8, v6
	s_or_b32 exec_lo, exec_lo, s36
	s_and_saveexec_b32 s31, vcc_lo
	s_cbranch_execz .LBB36_30
.LBB36_96:                              ;   in Loop: Header=BB36_31 Depth=1
	ds_store_b32 v1, v7 offset:16508
	s_branch .LBB36_30
.LBB36_97:
	s_or_b32 exec_lo, exec_lo, s35
	s_ashr_i32 s35, s34, 31
	s_delay_alu instid0(SALU_CYCLE_1) | instskip(NEXT) | instid1(SALU_CYCLE_1)
	s_lshl_b64 s[0:1], s[34:35], 3
	s_add_nc_u64 s[4:5], s[40:41], s[0:1]
	s_load_b128 s[0:3], s[4:5], 0x0
	s_wait_xcnt 0x0
	s_mov_b32 s4, exec_lo
	s_wait_kmcnt 0x0
	s_sub_co_i32 s3, s2, s0
	s_delay_alu instid0(SALU_CYCLE_1)
	v_cmpx_gt_i32_e64 s3, v0
	s_cbranch_execz .LBB36_107
; %bb.98:
	s_sub_co_i32 s4, s0, s2
	s_and_b32 s2, s3, 7
	s_cmp_lt_u32 s4, -7
	s_mov_b32 s39, 0
	s_cselect_b32 s4, -1, 0
	s_and_b32 s5, s3, -8
	s_cmp_lg_u32 s2, 0
	s_sub_nc_u64 s[0:1], s[0:1], s[38:39]
	s_cselect_b32 s6, -1, 0
	s_mov_b32 s7, 0
	s_branch .LBB36_100
.LBB36_99:                              ;   in Loop: Header=BB36_100 Depth=1
	v_add_nc_u32_e32 v0, 0x400, v0
	s_wait_dscnt 0x0
	v_add_nc_u32_e32 v1, s38, v1
	s_delay_alu instid0(VALU_DEP_3) | instskip(NEXT) | instid1(VALU_DEP_3)
	v_lshl_add_u64 v[2:3], v[2:3], 2, s[42:43]
	v_cmp_le_i32_e32 vcc_lo, s3, v0
	global_store_b32 v[2:3], v1, off
	s_or_b32 s7, vcc_lo, s7
	s_wait_xcnt 0x0
	s_and_not1_b32 exec_lo, exec_lo, s7
	s_cbranch_execz .LBB36_107
.LBB36_100:                             ; =>This Loop Header: Depth=1
                                        ;     Child Loop BB36_102 Depth 2
                                        ;     Child Loop BB36_106 Depth 2
	v_lshl_add_u32 v1, v0, 2, 0
	v_mov_b64_e32 v[2:3], s[0:1]
	s_and_not1_b32 vcc_lo, exec_lo, s4
	s_mov_b32 s8, 0
	ds_load_b32 v1, v1
	s_cbranch_vccnz .LBB36_104
; %bb.101:                              ;   in Loop: Header=BB36_100 Depth=1
	v_mov_b64_e32 v[2:3], s[0:1]
	s_mov_b32 s9, 0
.LBB36_102:                             ;   Parent Loop BB36_100 Depth=1
                                        ; =>  This Inner Loop Header: Depth=2
	s_delay_alu instid0(SALU_CYCLE_1)
	v_dual_mov_b32 v8, s9 :: v_dual_mov_b32 v9, s39
	v_mov_b32_e32 v15, s39
	s_add_co_i32 s8, s8, 8
	s_add_co_i32 s9, s9, 32
	ds_load_2addr_b32 v[4:5], v8 offset1:1
	ds_load_2addr_b32 v[6:7], v8 offset0:2 offset1:3
	ds_load_2addr_b32 v[10:11], v8 offset0:4 offset1:5
	;; [unrolled: 1-line block ×3, first 2 shown]
	s_cmp_eq_u32 s5, s8
	s_wait_dscnt 0x3
	v_cmp_gt_i32_e32 vcc_lo, v1, v4
	v_cndmask_b32_e64 v8, 0, 1, vcc_lo
	v_cmp_gt_i32_e32 vcc_lo, v1, v5
	v_mov_b32_e32 v5, s39
	s_delay_alu instid0(VALU_DEP_3) | instskip(SKIP_4) | instid1(VALU_DEP_3)
	v_add_nc_u64_e32 v[2:3], v[2:3], v[8:9]
	v_cndmask_b32_e64 v14, 0, 1, vcc_lo
	s_wait_dscnt 0x2
	v_cmp_gt_i32_e32 vcc_lo, v1, v6
	v_cndmask_b32_e64 v4, 0, 1, vcc_lo
	v_add_nc_u64_e32 v[2:3], v[2:3], v[14:15]
	v_cmp_gt_i32_e32 vcc_lo, v1, v7
	v_mov_b32_e32 v7, s39
	v_cndmask_b32_e64 v8, 0, 1, vcc_lo
	s_delay_alu instid0(VALU_DEP_4) | instskip(SKIP_3) | instid1(VALU_DEP_3)
	v_add_nc_u64_e32 v[2:3], v[2:3], v[4:5]
	s_wait_dscnt 0x1
	v_cmp_gt_i32_e32 vcc_lo, v1, v10
	v_cndmask_b32_e64 v4, 0, 1, vcc_lo
	v_add_nc_u64_e32 v[2:3], v[2:3], v[8:9]
	v_cmp_gt_i32_e32 vcc_lo, v1, v11
	v_cndmask_b32_e64 v6, 0, 1, vcc_lo
	s_delay_alu instid0(VALU_DEP_3) | instskip(SKIP_3) | instid1(VALU_DEP_3)
	v_add_nc_u64_e32 v[2:3], v[2:3], v[4:5]
	s_wait_dscnt 0x0
	v_cmp_gt_i32_e32 vcc_lo, v1, v12
	v_cndmask_b32_e64 v4, 0, 1, vcc_lo
	v_add_nc_u64_e32 v[2:3], v[2:3], v[6:7]
	v_cmp_gt_i32_e32 vcc_lo, v1, v13
	v_cndmask_b32_e64 v6, 0, 1, vcc_lo
	s_delay_alu instid0(VALU_DEP_3) | instskip(NEXT) | instid1(VALU_DEP_1)
	v_add_nc_u64_e32 v[2:3], v[2:3], v[4:5]
	v_add_nc_u64_e32 v[2:3], v[2:3], v[6:7]
	s_cbranch_scc0 .LBB36_102
; %bb.103:                              ;   in Loop: Header=BB36_100 Depth=1
	s_mov_b32 s8, s5
.LBB36_104:                             ;   in Loop: Header=BB36_100 Depth=1
	s_and_not1_b32 vcc_lo, exec_lo, s6
	s_cbranch_vccnz .LBB36_99
; %bb.105:                              ;   in Loop: Header=BB36_100 Depth=1
	s_lshl_b32 s8, s8, 2
	s_mov_b32 s9, s2
	s_add_co_i32 s8, s8, 0
.LBB36_106:                             ;   Parent Loop BB36_100 Depth=1
                                        ; =>  This Inner Loop Header: Depth=2
	s_delay_alu instid0(SALU_CYCLE_1)
	v_dual_mov_b32 v4, s8 :: v_dual_mov_b32 v5, s39
	s_add_co_i32 s9, s9, -1
	s_add_co_i32 s8, s8, 4
	s_cmp_lg_u32 s9, 0
	ds_load_b32 v4, v4
	s_wait_dscnt 0x0
	v_cmp_gt_i32_e32 vcc_lo, v1, v4
	v_cndmask_b32_e64 v4, 0, 1, vcc_lo
	s_delay_alu instid0(VALU_DEP_1)
	v_add_nc_u64_e32 v[2:3], v[2:3], v[4:5]
	s_cbranch_scc1 .LBB36_106
	s_branch .LBB36_99
.LBB36_107:
	s_endpgm
	.section	.rodata,"a",@progbits
	.p2align	6, 0x0
	.amdhsa_kernel _ZN9rocsparseL35csrgemm_symbolic_fill_block_per_rowILj1024ELj64ELj4096ELj137ELj32EliEEvT5_PKS1_S3_PKT4_S3_S6_S3_S6_S3_S6_PS1_21rocsparse_index_base_S8_S8_S8_bb
		.amdhsa_group_segment_fixed_size 0
		.amdhsa_private_segment_fixed_size 0
		.amdhsa_kernarg_size 108
		.amdhsa_user_sgpr_count 2
		.amdhsa_user_sgpr_dispatch_ptr 0
		.amdhsa_user_sgpr_queue_ptr 0
		.amdhsa_user_sgpr_kernarg_segment_ptr 1
		.amdhsa_user_sgpr_dispatch_id 0
		.amdhsa_user_sgpr_kernarg_preload_length 0
		.amdhsa_user_sgpr_kernarg_preload_offset 0
		.amdhsa_user_sgpr_private_segment_size 0
		.amdhsa_wavefront_size32 1
		.amdhsa_uses_dynamic_stack 0
		.amdhsa_enable_private_segment 0
		.amdhsa_system_sgpr_workgroup_id_x 1
		.amdhsa_system_sgpr_workgroup_id_y 0
		.amdhsa_system_sgpr_workgroup_id_z 0
		.amdhsa_system_sgpr_workgroup_info 0
		.amdhsa_system_vgpr_workitem_id 0
		.amdhsa_next_free_vgpr 16
		.amdhsa_next_free_sgpr 44
		.amdhsa_named_barrier_count 0
		.amdhsa_reserve_vcc 1
		.amdhsa_float_round_mode_32 0
		.amdhsa_float_round_mode_16_64 0
		.amdhsa_float_denorm_mode_32 3
		.amdhsa_float_denorm_mode_16_64 3
		.amdhsa_fp16_overflow 0
		.amdhsa_memory_ordered 1
		.amdhsa_forward_progress 1
		.amdhsa_inst_pref_size 28
		.amdhsa_round_robin_scheduling 0
		.amdhsa_exception_fp_ieee_invalid_op 0
		.amdhsa_exception_fp_denorm_src 0
		.amdhsa_exception_fp_ieee_div_zero 0
		.amdhsa_exception_fp_ieee_overflow 0
		.amdhsa_exception_fp_ieee_underflow 0
		.amdhsa_exception_fp_ieee_inexact 0
		.amdhsa_exception_int_div_zero 0
	.end_amdhsa_kernel
	.section	.text._ZN9rocsparseL35csrgemm_symbolic_fill_block_per_rowILj1024ELj64ELj4096ELj137ELj32EliEEvT5_PKS1_S3_PKT4_S3_S6_S3_S6_S3_S6_PS1_21rocsparse_index_base_S8_S8_S8_bb,"axG",@progbits,_ZN9rocsparseL35csrgemm_symbolic_fill_block_per_rowILj1024ELj64ELj4096ELj137ELj32EliEEvT5_PKS1_S3_PKT4_S3_S6_S3_S6_S3_S6_PS1_21rocsparse_index_base_S8_S8_S8_bb,comdat
.Lfunc_end36:
	.size	_ZN9rocsparseL35csrgemm_symbolic_fill_block_per_rowILj1024ELj64ELj4096ELj137ELj32EliEEvT5_PKS1_S3_PKT4_S3_S6_S3_S6_S3_S6_PS1_21rocsparse_index_base_S8_S8_S8_bb, .Lfunc_end36-_ZN9rocsparseL35csrgemm_symbolic_fill_block_per_rowILj1024ELj64ELj4096ELj137ELj32EliEEvT5_PKS1_S3_PKT4_S3_S6_S3_S6_S3_S6_PS1_21rocsparse_index_base_S8_S8_S8_bb
                                        ; -- End function
	.set _ZN9rocsparseL35csrgemm_symbolic_fill_block_per_rowILj1024ELj64ELj4096ELj137ELj32EliEEvT5_PKS1_S3_PKT4_S3_S6_S3_S6_S3_S6_PS1_21rocsparse_index_base_S8_S8_S8_bb.num_vgpr, 16
	.set _ZN9rocsparseL35csrgemm_symbolic_fill_block_per_rowILj1024ELj64ELj4096ELj137ELj32EliEEvT5_PKS1_S3_PKT4_S3_S6_S3_S6_S3_S6_PS1_21rocsparse_index_base_S8_S8_S8_bb.num_agpr, 0
	.set _ZN9rocsparseL35csrgemm_symbolic_fill_block_per_rowILj1024ELj64ELj4096ELj137ELj32EliEEvT5_PKS1_S3_PKT4_S3_S6_S3_S6_S3_S6_PS1_21rocsparse_index_base_S8_S8_S8_bb.numbered_sgpr, 44
	.set _ZN9rocsparseL35csrgemm_symbolic_fill_block_per_rowILj1024ELj64ELj4096ELj137ELj32EliEEvT5_PKS1_S3_PKT4_S3_S6_S3_S6_S3_S6_PS1_21rocsparse_index_base_S8_S8_S8_bb.num_named_barrier, 0
	.set _ZN9rocsparseL35csrgemm_symbolic_fill_block_per_rowILj1024ELj64ELj4096ELj137ELj32EliEEvT5_PKS1_S3_PKT4_S3_S6_S3_S6_S3_S6_PS1_21rocsparse_index_base_S8_S8_S8_bb.private_seg_size, 0
	.set _ZN9rocsparseL35csrgemm_symbolic_fill_block_per_rowILj1024ELj64ELj4096ELj137ELj32EliEEvT5_PKS1_S3_PKT4_S3_S6_S3_S6_S3_S6_PS1_21rocsparse_index_base_S8_S8_S8_bb.uses_vcc, 1
	.set _ZN9rocsparseL35csrgemm_symbolic_fill_block_per_rowILj1024ELj64ELj4096ELj137ELj32EliEEvT5_PKS1_S3_PKT4_S3_S6_S3_S6_S3_S6_PS1_21rocsparse_index_base_S8_S8_S8_bb.uses_flat_scratch, 0
	.set _ZN9rocsparseL35csrgemm_symbolic_fill_block_per_rowILj1024ELj64ELj4096ELj137ELj32EliEEvT5_PKS1_S3_PKT4_S3_S6_S3_S6_S3_S6_PS1_21rocsparse_index_base_S8_S8_S8_bb.has_dyn_sized_stack, 0
	.set _ZN9rocsparseL35csrgemm_symbolic_fill_block_per_rowILj1024ELj64ELj4096ELj137ELj32EliEEvT5_PKS1_S3_PKT4_S3_S6_S3_S6_S3_S6_PS1_21rocsparse_index_base_S8_S8_S8_bb.has_recursion, 0
	.set _ZN9rocsparseL35csrgemm_symbolic_fill_block_per_rowILj1024ELj64ELj4096ELj137ELj32EliEEvT5_PKS1_S3_PKT4_S3_S6_S3_S6_S3_S6_PS1_21rocsparse_index_base_S8_S8_S8_bb.has_indirect_call, 0
	.section	.AMDGPU.csdata,"",@progbits
; Kernel info:
; codeLenInByte = 3572
; TotalNumSgprs: 46
; NumVgprs: 16
; ScratchSize: 0
; MemoryBound: 0
; FloatMode: 240
; IeeeMode: 1
; LDSByteSize: 0 bytes/workgroup (compile time only)
; SGPRBlocks: 0
; VGPRBlocks: 0
; NumSGPRsForWavesPerEU: 46
; NumVGPRsForWavesPerEU: 16
; NamedBarCnt: 0
; Occupancy: 16
; WaveLimiterHint : 1
; COMPUTE_PGM_RSRC2:SCRATCH_EN: 0
; COMPUTE_PGM_RSRC2:USER_SGPR: 2
; COMPUTE_PGM_RSRC2:TRAP_HANDLER: 0
; COMPUTE_PGM_RSRC2:TGID_X_EN: 1
; COMPUTE_PGM_RSRC2:TGID_Y_EN: 0
; COMPUTE_PGM_RSRC2:TGID_Z_EN: 0
; COMPUTE_PGM_RSRC2:TIDIG_COMP_CNT: 0
	.section	.text._ZN9rocsparseL35csrgemm_symbolic_fill_block_per_rowILj1024ELj64ELj4096ELj137ELj64EliEEvT5_PKS1_S3_PKT4_S3_S6_S3_S6_S3_S6_PS1_21rocsparse_index_base_S8_S8_S8_bb,"axG",@progbits,_ZN9rocsparseL35csrgemm_symbolic_fill_block_per_rowILj1024ELj64ELj4096ELj137ELj64EliEEvT5_PKS1_S3_PKT4_S3_S6_S3_S6_S3_S6_PS1_21rocsparse_index_base_S8_S8_S8_bb,comdat
	.globl	_ZN9rocsparseL35csrgemm_symbolic_fill_block_per_rowILj1024ELj64ELj4096ELj137ELj64EliEEvT5_PKS1_S3_PKT4_S3_S6_S3_S6_S3_S6_PS1_21rocsparse_index_base_S8_S8_S8_bb ; -- Begin function _ZN9rocsparseL35csrgemm_symbolic_fill_block_per_rowILj1024ELj64ELj4096ELj137ELj64EliEEvT5_PKS1_S3_PKT4_S3_S6_S3_S6_S3_S6_PS1_21rocsparse_index_base_S8_S8_S8_bb
	.p2align	8
	.type	_ZN9rocsparseL35csrgemm_symbolic_fill_block_per_rowILj1024ELj64ELj4096ELj137ELj64EliEEvT5_PKS1_S3_PKT4_S3_S6_S3_S6_S3_S6_PS1_21rocsparse_index_base_S8_S8_S8_bb,@function
_ZN9rocsparseL35csrgemm_symbolic_fill_block_per_rowILj1024ELj64ELj4096ELj137ELj64EliEEvT5_PKS1_S3_PKT4_S3_S6_S3_S6_S3_S6_PS1_21rocsparse_index_base_S8_S8_S8_bb: ; @_ZN9rocsparseL35csrgemm_symbolic_fill_block_per_rowILj1024ELj64ELj4096ELj137ELj64EliEEvT5_PKS1_S3_PKT4_S3_S6_S3_S6_S3_S6_PS1_21rocsparse_index_base_S8_S8_S8_bb
; %bb.0:
	s_clause 0x1
	s_load_b32 s26, s[0:1], 0x0
	s_load_b128 s[4:7], s[0:1], 0x8
	v_lshl_add_u32 v12, v0, 2, 0
	s_bfe_u32 s3, ttmp6, 0x4000c
	s_load_b32 s12, s[0:1], 0x68
	s_add_co_i32 s3, s3, 1
	s_delay_alu instid0(SALU_CYCLE_1)
	s_mul_i32 s3, ttmp9, s3
	s_wait_kmcnt 0x0
	v_dual_mov_b32 v1, s26 :: v_dual_mov_b32 v2, s26
	v_dual_mov_b32 v3, s26 :: v_dual_mov_b32 v4, s26
	ds_store_2addr_stride64_b32 v12, v1, v2 offset1:16
	ds_store_2addr_stride64_b32 v12, v3, v4 offset0:32 offset1:48
	s_wait_dscnt 0x0
	s_barrier_signal -1
	s_barrier_wait -1
	s_load_b32 s2, s[4:5], 0x0
	s_wait_xcnt 0x0
	s_and_b32 s4, ttmp6, 15
	s_getreg_b32 s5, hwreg(HW_REG_IB_STS2, 6, 4)
	s_add_co_i32 s4, s4, s3
	s_cmp_eq_u32 s5, 0
	v_lshrrev_b32_e32 v2, 6, v0
	s_cselect_b32 s3, ttmp9, s4
	s_wait_kmcnt 0x0
	s_add_co_i32 s2, s2, s3
	s_load_b128 s[16:19], s[0:1], 0x58
	s_load_b32 s24, s[6:7], s2 offset:0x0 scale_offset
	s_bitcmp0_b32 s12, 0
	s_mov_b32 s3, 0
	s_cbranch_scc1 .LBB37_16
; %bb.1:
	s_load_b64 s[4:5], s[0:1], 0x18
	s_wait_kmcnt 0x0
	s_ashr_i32 s25, s24, 31
	v_mov_b32_e32 v3, 0
	s_lshl_b64 s[6:7], s[24:25], 3
	s_mov_b32 s2, s16
	s_mov_b32 s13, exec_lo
	s_delay_alu instid0(VALU_DEP_1) | instskip(SKIP_3) | instid1(VALU_DEP_1)
	v_sub_nc_u64_e64 v[4:5], v[2:3], s[2:3]
	s_add_nc_u64 s[8:9], s[4:5], s[6:7]
	s_load_b128 s[4:7], s[8:9], 0x0
	s_wait_kmcnt 0x0
	v_add_nc_u64_e32 v[4:5], s[4:5], v[4:5]
	s_sub_nc_u64 s[2:3], s[6:7], s[2:3]
	s_delay_alu instid0(VALU_DEP_1) | instid1(SALU_CYCLE_1)
	v_cmpx_gt_i64_e64 s[2:3], v[4:5]
	s_cbranch_execz .LBB37_15
; %bb.2:
	s_clause 0x1
	s_load_b128 s[4:7], s[0:1], 0x20
	s_load_b64 s[8:9], s[0:1], 0x30
	v_dual_mov_b32 v7, v3 :: v_dual_bitop2_b32 v6, 63, v0 bitop3:0x40
	s_mov_b32 s11, 0
	s_mov_b32 s10, s17
	;; [unrolled: 1-line block ×3, first 2 shown]
	s_delay_alu instid0(VALU_DEP_1)
	v_sub_nc_u64_e64 v[6:7], v[6:7], s[10:11]
	s_branch .LBB37_4
.LBB37_3:                               ;   in Loop: Header=BB37_4 Depth=1
	s_or_b32 exec_lo, exec_lo, s15
	v_add_nc_u64_e32 v[4:5], 16, v[4:5]
	s_delay_alu instid0(VALU_DEP_1) | instskip(SKIP_1) | instid1(SALU_CYCLE_1)
	v_cmp_le_i64_e32 vcc_lo, s[2:3], v[4:5]
	s_or_b32 s14, vcc_lo, s14
	s_and_not1_b32 exec_lo, exec_lo, s14
	s_cbranch_execz .LBB37_15
.LBB37_4:                               ; =>This Loop Header: Depth=1
                                        ;     Child Loop BB37_7 Depth 2
                                        ;       Child Loop BB37_10 Depth 3
	s_wait_kmcnt 0x0
	v_lshl_add_u64 v[8:9], v[4:5], 2, s[4:5]
	s_mov_b32 s15, exec_lo
	global_load_b32 v1, v[8:9], off
	s_wait_loadcnt 0x0
	v_subrev_nc_u32_e32 v8, s16, v1
	s_delay_alu instid0(VALU_DEP_1) | instskip(NEXT) | instid1(VALU_DEP_1)
	v_ashrrev_i32_e32 v9, 31, v8
	v_lshl_add_u64 v[8:9], v[8:9], 3, s[6:7]
	global_load_b128 v[14:17], v[8:9], off
	s_wait_loadcnt 0x0
	v_sub_nc_u64_e64 v[8:9], v[16:17], s[10:11]
	v_add_nc_u64_e32 v[10:11], v[14:15], v[6:7]
	s_delay_alu instid0(VALU_DEP_1)
	v_cmpx_lt_i64_e64 v[10:11], v[8:9]
	s_cbranch_execz .LBB37_3
; %bb.5:                                ;   in Loop: Header=BB37_4 Depth=1
	s_mov_b32 s20, 0
	s_branch .LBB37_7
.LBB37_6:                               ;   in Loop: Header=BB37_7 Depth=2
	s_or_b32 exec_lo, exec_lo, s21
	v_add_nc_u64_e32 v[10:11], 64, v[10:11]
	s_delay_alu instid0(VALU_DEP_1) | instskip(SKIP_1) | instid1(SALU_CYCLE_1)
	v_cmp_ge_i64_e32 vcc_lo, v[10:11], v[8:9]
	s_or_b32 s20, vcc_lo, s20
	s_and_not1_b32 exec_lo, exec_lo, s20
	s_cbranch_execz .LBB37_3
.LBB37_7:                               ;   Parent Loop BB37_4 Depth=1
                                        ; =>  This Loop Header: Depth=2
                                        ;       Child Loop BB37_10 Depth 3
	v_lshl_add_u64 v[14:15], v[10:11], 2, s[8:9]
	s_mov_b32 s21, 0
                                        ; implicit-def: $sgpr22
	global_load_b32 v1, v[14:15], off
	s_wait_loadcnt 0x0
	v_subrev_nc_u32_e32 v1, s17, v1
	s_delay_alu instid0(VALU_DEP_1) | instskip(NEXT) | instid1(VALU_DEP_1)
	v_mul_lo_u32 v3, 0x89, v1
	v_and_b32_e32 v3, 0xfff, v3
	s_branch .LBB37_10
.LBB37_8:                               ;   in Loop: Header=BB37_10 Depth=3
	s_or_b32 exec_lo, exec_lo, s25
	s_delay_alu instid0(SALU_CYCLE_1) | instskip(SKIP_1) | instid1(SALU_CYCLE_1)
	s_and_not1_b32 s22, s22, exec_lo
	s_and_b32 s25, s27, exec_lo
	s_or_b32 s22, s22, s25
.LBB37_9:                               ;   in Loop: Header=BB37_10 Depth=3
	s_or_b32 exec_lo, exec_lo, s23
	s_xor_b32 s23, s22, -1
	s_delay_alu instid0(SALU_CYCLE_1) | instskip(NEXT) | instid1(SALU_CYCLE_1)
	s_and_b32 s23, exec_lo, s23
	s_or_b32 s21, s23, s21
	s_delay_alu instid0(SALU_CYCLE_1)
	s_and_not1_b32 exec_lo, exec_lo, s21
	s_cbranch_execz .LBB37_6
.LBB37_10:                              ;   Parent Loop BB37_4 Depth=1
                                        ;     Parent Loop BB37_7 Depth=2
                                        ; =>    This Inner Loop Header: Depth=3
	s_delay_alu instid0(VALU_DEP_1)
	v_lshl_add_u32 v13, v3, 2, 0
	s_and_not1_b32 s22, s22, exec_lo
	s_mov_b32 s23, exec_lo
	ds_load_b32 v14, v13
	s_wait_dscnt 0x0
	v_cmpx_ne_u32_e64 v14, v1
	s_cbranch_execz .LBB37_9
; %bb.11:                               ;   in Loop: Header=BB37_10 Depth=3
	s_mov_b32 s25, exec_lo
	v_cmpx_ne_u32_e64 s26, v14
	s_xor_b32 s25, exec_lo, s25
; %bb.12:                               ;   in Loop: Header=BB37_10 Depth=3
	v_add_nc_u32_e32 v3, 1, v3
                                        ; implicit-def: $vgpr13
	s_delay_alu instid0(VALU_DEP_1)
	v_and_b32_e32 v3, 0xfff, v3
; %bb.13:                               ;   in Loop: Header=BB37_10 Depth=3
	s_or_saveexec_b32 s25, s25
	s_mov_b32 s27, -1
	s_xor_b32 exec_lo, exec_lo, s25
	s_cbranch_execz .LBB37_8
; %bb.14:                               ;   in Loop: Header=BB37_10 Depth=3
	v_mov_b32_e32 v14, s26
	ds_cmpstore_rtn_b32 v13, v13, v1, v14
	s_wait_dscnt 0x0
	v_cmp_ne_u32_e32 vcc_lo, s26, v13
	s_or_not1_b32 s27, vcc_lo, exec_lo
	s_branch .LBB37_8
.LBB37_15:
	s_or_b32 exec_lo, exec_lo, s13
.LBB37_16:
	s_wait_xcnt 0x0
	s_bfe_u32 s2, s12, 0x10008
	s_delay_alu instid0(SALU_CYCLE_1)
	s_cmp_eq_u32 s2, 0
	s_cbranch_scc1 .LBB37_29
; %bb.17:
	s_load_b64 s[2:3], s[0:1], 0x38
	s_wait_kmcnt 0x0
	s_ashr_i32 s25, s24, 31
	v_mov_b32_e32 v1, 0
	s_lshl_b64 s[4:5], s[24:25], 3
	s_delay_alu instid0(SALU_CYCLE_1) | instskip(SKIP_4) | instid1(SALU_CYCLE_1)
	s_add_nc_u64 s[2:3], s[2:3], s[4:5]
	s_load_b128 s[4:7], s[2:3], 0x0
	s_wait_xcnt 0x0
	s_mov_b32 s3, 0
	s_mov_b32 s2, s19
	v_sub_nc_u64_e64 v[4:5], v[0:1], s[2:3]
	s_wait_kmcnt 0x0
	s_delay_alu instid0(VALU_DEP_1) | instskip(SKIP_2) | instid1(VALU_DEP_1)
	v_add_nc_u64_e32 v[4:5], s[4:5], v[4:5]
	s_sub_nc_u64 s[4:5], s[6:7], s[2:3]
	s_mov_b32 s2, exec_lo
	v_cmpx_gt_i64_e64 s[4:5], v[4:5]
	s_cbranch_execz .LBB37_28
; %bb.18:
	s_load_b64 s[6:7], s[0:1], 0x40
	s_branch .LBB37_20
.LBB37_19:                              ;   in Loop: Header=BB37_20 Depth=1
	s_or_b32 exec_lo, exec_lo, s8
	v_add_nc_u64_e32 v[4:5], 0x400, v[4:5]
	s_delay_alu instid0(VALU_DEP_1) | instskip(SKIP_1) | instid1(SALU_CYCLE_1)
	v_cmp_le_i64_e32 vcc_lo, s[4:5], v[4:5]
	s_or_b32 s3, vcc_lo, s3
	s_and_not1_b32 exec_lo, exec_lo, s3
	s_cbranch_execz .LBB37_28
.LBB37_20:                              ; =>This Loop Header: Depth=1
                                        ;     Child Loop BB37_23 Depth 2
	s_wait_kmcnt 0x0
	v_lshl_add_u64 v[6:7], v[4:5], 2, s[6:7]
	s_mov_b32 s8, 0
                                        ; implicit-def: $sgpr9
	global_load_b32 v1, v[6:7], off
	s_wait_loadcnt 0x0
	v_subrev_nc_u32_e32 v1, s19, v1
	s_delay_alu instid0(VALU_DEP_1) | instskip(NEXT) | instid1(VALU_DEP_1)
	v_mul_lo_u32 v3, 0x89, v1
	v_and_b32_e32 v3, 0xfff, v3
	s_branch .LBB37_23
.LBB37_21:                              ;   in Loop: Header=BB37_23 Depth=2
	s_or_b32 exec_lo, exec_lo, s11
	s_delay_alu instid0(SALU_CYCLE_1) | instskip(SKIP_1) | instid1(SALU_CYCLE_1)
	s_and_not1_b32 s9, s9, exec_lo
	s_and_b32 s11, s12, exec_lo
	s_or_b32 s9, s9, s11
.LBB37_22:                              ;   in Loop: Header=BB37_23 Depth=2
	s_or_b32 exec_lo, exec_lo, s10
	s_xor_b32 s10, s9, -1
	s_delay_alu instid0(SALU_CYCLE_1) | instskip(NEXT) | instid1(SALU_CYCLE_1)
	s_and_b32 s10, exec_lo, s10
	s_or_b32 s8, s10, s8
	s_delay_alu instid0(SALU_CYCLE_1)
	s_and_not1_b32 exec_lo, exec_lo, s8
	s_cbranch_execz .LBB37_19
.LBB37_23:                              ;   Parent Loop BB37_20 Depth=1
                                        ; =>  This Inner Loop Header: Depth=2
	s_delay_alu instid0(VALU_DEP_1)
	v_lshl_add_u32 v6, v3, 2, 0
	s_and_not1_b32 s9, s9, exec_lo
	s_mov_b32 s10, exec_lo
	ds_load_b32 v7, v6
	s_wait_dscnt 0x0
	v_cmpx_ne_u32_e64 v7, v1
	s_cbranch_execz .LBB37_22
; %bb.24:                               ;   in Loop: Header=BB37_23 Depth=2
	s_mov_b32 s11, exec_lo
	v_cmpx_ne_u32_e64 s26, v7
	s_xor_b32 s11, exec_lo, s11
; %bb.25:                               ;   in Loop: Header=BB37_23 Depth=2
	v_add_nc_u32_e32 v3, 1, v3
                                        ; implicit-def: $vgpr6
	s_delay_alu instid0(VALU_DEP_1)
	v_and_b32_e32 v3, 0xfff, v3
; %bb.26:                               ;   in Loop: Header=BB37_23 Depth=2
	s_or_saveexec_b32 s11, s11
	s_mov_b32 s12, -1
	s_xor_b32 exec_lo, exec_lo, s11
	s_cbranch_execz .LBB37_21
; %bb.27:                               ;   in Loop: Header=BB37_23 Depth=2
	v_mov_b32_e32 v7, s26
	ds_cmpstore_rtn_b32 v6, v6, v1, v7
	s_wait_dscnt 0x0
	v_cmp_ne_u32_e32 vcc_lo, s26, v6
	s_or_not1_b32 s12, vcc_lo, exec_lo
	s_branch .LBB37_21
.LBB37_28:
	s_or_b32 exec_lo, exec_lo, s2
.LBB37_29:
	s_load_b128 s[20:23], s[0:1], 0x48
	v_mbcnt_lo_u32_b32 v4, -1, 0
	v_mov_b32_e32 v1, 0
	v_lshl_add_u32 v3, v2, 2, 0
	s_wait_xcnt 0x0
	v_cmp_lt_u32_e64 s0, 63, v0
	v_cmp_lt_u32_e64 s1, 0x7f, v0
	v_xor_b32_e32 v2, 31, v4
	v_cmp_lt_u32_e64 s2, 0xbf, v0
	v_cmp_lt_u32_e64 s3, 0xff, v0
	;; [unrolled: 1-line block ×4, first 2 shown]
	v_lshrrev_b32_e64 v2, v2, -1
	v_cmp_lt_u32_e64 s6, 0x1bf, v0
	v_cmp_lt_u32_e64 s7, 0x1ff, v0
	;; [unrolled: 1-line block ×9, first 2 shown]
	v_or_b32_e32 v4, 0xfffffc00, v0
	v_mov_b32_e32 v5, 0
	s_wait_kmcnt 0x0
	s_mov_b32 s16, 0
	v_cmp_eq_u32_e32 vcc_lo, 0x3ff, v0
	s_barrier_signal -1
	s_barrier_wait -1
	s_branch .LBB37_31
.LBB37_30:                              ;   in Loop: Header=BB37_31 Depth=1
	s_or_b32 exec_lo, exec_lo, s15
	s_wait_dscnt 0x0
	s_barrier_signal -1
	s_barrier_wait -1
	ds_load_b32 v6, v1 offset:16444
	v_add_nc_u32_e32 v4, 0x400, v4
	v_add_nc_u32_e32 v12, 0x1000, v12
	s_delay_alu instid0(VALU_DEP_2)
	v_cmp_lt_u32_e64 s15, 0xbff, v4
	s_or_b32 s16, s15, s16
	s_wait_dscnt 0x0
	v_add_nc_u32_e32 v5, v6, v5
	s_and_not1_b32 exec_lo, exec_lo, s16
	s_cbranch_execz .LBB37_65
.LBB37_31:                              ; =>This Inner Loop Header: Depth=1
	ds_load_b32 v6, v12
	s_wait_dscnt 0x0
	s_barrier_signal -1
	s_barrier_wait -1
	v_cmp_gt_i32_e64 s15, s26, v6
	s_bcnt1_i32_b32 s17, s15
	s_delay_alu instid0(SALU_CYCLE_1) | instskip(NEXT) | instid1(VALU_DEP_1)
	v_dual_mov_b32 v8, s17 :: v_dual_bitop2_b32 v7, s15, v2 bitop3:0x40
	v_bcnt_u32_b32 v7, v7, 0
	ds_store_b32 v3, v8 offset:16384
	s_wait_dscnt 0x0
	s_barrier_signal -1
	s_barrier_wait -1
	s_and_saveexec_b32 s17, s0
	s_cbranch_execnz .LBB37_48
; %bb.32:                               ;   in Loop: Header=BB37_31 Depth=1
	s_or_b32 exec_lo, exec_lo, s17
	s_and_saveexec_b32 s17, s1
	s_cbranch_execnz .LBB37_49
.LBB37_33:                              ;   in Loop: Header=BB37_31 Depth=1
	s_or_b32 exec_lo, exec_lo, s17
	s_and_saveexec_b32 s17, s2
	s_cbranch_execnz .LBB37_50
.LBB37_34:                              ;   in Loop: Header=BB37_31 Depth=1
	s_or_b32 exec_lo, exec_lo, s17
	s_and_saveexec_b32 s17, s3
	s_cbranch_execnz .LBB37_51
.LBB37_35:                              ;   in Loop: Header=BB37_31 Depth=1
	s_or_b32 exec_lo, exec_lo, s17
	s_and_saveexec_b32 s17, s4
	s_cbranch_execnz .LBB37_52
.LBB37_36:                              ;   in Loop: Header=BB37_31 Depth=1
	s_or_b32 exec_lo, exec_lo, s17
	s_and_saveexec_b32 s17, s5
	s_cbranch_execnz .LBB37_53
.LBB37_37:                              ;   in Loop: Header=BB37_31 Depth=1
	s_or_b32 exec_lo, exec_lo, s17
	s_and_saveexec_b32 s17, s6
	s_cbranch_execnz .LBB37_54
.LBB37_38:                              ;   in Loop: Header=BB37_31 Depth=1
	s_or_b32 exec_lo, exec_lo, s17
	s_and_saveexec_b32 s17, s7
	s_cbranch_execnz .LBB37_55
.LBB37_39:                              ;   in Loop: Header=BB37_31 Depth=1
	s_or_b32 exec_lo, exec_lo, s17
	s_and_saveexec_b32 s17, s8
	s_cbranch_execnz .LBB37_56
.LBB37_40:                              ;   in Loop: Header=BB37_31 Depth=1
	s_or_b32 exec_lo, exec_lo, s17
	s_and_saveexec_b32 s17, s9
	s_cbranch_execnz .LBB37_57
.LBB37_41:                              ;   in Loop: Header=BB37_31 Depth=1
	s_or_b32 exec_lo, exec_lo, s17
	s_and_saveexec_b32 s17, s10
	s_cbranch_execnz .LBB37_58
.LBB37_42:                              ;   in Loop: Header=BB37_31 Depth=1
	s_or_b32 exec_lo, exec_lo, s17
	s_and_saveexec_b32 s17, s11
	s_cbranch_execnz .LBB37_59
.LBB37_43:                              ;   in Loop: Header=BB37_31 Depth=1
	s_or_b32 exec_lo, exec_lo, s17
	s_and_saveexec_b32 s17, s12
	s_cbranch_execnz .LBB37_60
.LBB37_44:                              ;   in Loop: Header=BB37_31 Depth=1
	s_or_b32 exec_lo, exec_lo, s17
	s_and_saveexec_b32 s17, s13
	s_cbranch_execnz .LBB37_61
.LBB37_45:                              ;   in Loop: Header=BB37_31 Depth=1
	s_or_b32 exec_lo, exec_lo, s17
	s_and_saveexec_b32 s17, s14
	s_cbranch_execnz .LBB37_62
.LBB37_46:                              ;   in Loop: Header=BB37_31 Depth=1
	s_or_b32 exec_lo, exec_lo, s17
	s_and_saveexec_b32 s17, s15
	s_cbranch_execnz .LBB37_63
.LBB37_47:                              ;   in Loop: Header=BB37_31 Depth=1
	s_or_b32 exec_lo, exec_lo, s17
	s_and_saveexec_b32 s15, vcc_lo
	s_cbranch_execz .LBB37_30
	s_branch .LBB37_64
.LBB37_48:                              ;   in Loop: Header=BB37_31 Depth=1
	ds_load_b32 v8, v1 offset:16384
	s_wait_dscnt 0x0
	v_add_nc_u32_e32 v7, v8, v7
	s_or_b32 exec_lo, exec_lo, s17
	s_and_saveexec_b32 s17, s1
	s_cbranch_execz .LBB37_33
.LBB37_49:                              ;   in Loop: Header=BB37_31 Depth=1
	ds_load_b32 v8, v1 offset:16388
	s_wait_dscnt 0x0
	v_add_nc_u32_e32 v7, v8, v7
	s_or_b32 exec_lo, exec_lo, s17
	s_and_saveexec_b32 s17, s2
	s_cbranch_execz .LBB37_34
.LBB37_50:                              ;   in Loop: Header=BB37_31 Depth=1
	ds_load_b32 v8, v1 offset:16392
	s_wait_dscnt 0x0
	v_add_nc_u32_e32 v7, v8, v7
	s_or_b32 exec_lo, exec_lo, s17
	s_and_saveexec_b32 s17, s3
	s_cbranch_execz .LBB37_35
.LBB37_51:                              ;   in Loop: Header=BB37_31 Depth=1
	ds_load_b32 v8, v1 offset:16396
	s_wait_dscnt 0x0
	v_add_nc_u32_e32 v7, v8, v7
	s_or_b32 exec_lo, exec_lo, s17
	s_and_saveexec_b32 s17, s4
	s_cbranch_execz .LBB37_36
.LBB37_52:                              ;   in Loop: Header=BB37_31 Depth=1
	ds_load_b32 v8, v1 offset:16400
	s_wait_dscnt 0x0
	v_add_nc_u32_e32 v7, v8, v7
	s_or_b32 exec_lo, exec_lo, s17
	s_and_saveexec_b32 s17, s5
	s_cbranch_execz .LBB37_37
.LBB37_53:                              ;   in Loop: Header=BB37_31 Depth=1
	ds_load_b32 v8, v1 offset:16404
	s_wait_dscnt 0x0
	v_add_nc_u32_e32 v7, v8, v7
	s_or_b32 exec_lo, exec_lo, s17
	s_and_saveexec_b32 s17, s6
	s_cbranch_execz .LBB37_38
.LBB37_54:                              ;   in Loop: Header=BB37_31 Depth=1
	ds_load_b32 v8, v1 offset:16408
	s_wait_dscnt 0x0
	v_add_nc_u32_e32 v7, v8, v7
	s_or_b32 exec_lo, exec_lo, s17
	s_and_saveexec_b32 s17, s7
	s_cbranch_execz .LBB37_39
.LBB37_55:                              ;   in Loop: Header=BB37_31 Depth=1
	ds_load_b32 v8, v1 offset:16412
	s_wait_dscnt 0x0
	v_add_nc_u32_e32 v7, v8, v7
	s_or_b32 exec_lo, exec_lo, s17
	s_and_saveexec_b32 s17, s8
	s_cbranch_execz .LBB37_40
.LBB37_56:                              ;   in Loop: Header=BB37_31 Depth=1
	ds_load_b32 v8, v1 offset:16416
	s_wait_dscnt 0x0
	v_add_nc_u32_e32 v7, v8, v7
	s_or_b32 exec_lo, exec_lo, s17
	s_and_saveexec_b32 s17, s9
	s_cbranch_execz .LBB37_41
.LBB37_57:                              ;   in Loop: Header=BB37_31 Depth=1
	ds_load_b32 v8, v1 offset:16420
	s_wait_dscnt 0x0
	v_add_nc_u32_e32 v7, v8, v7
	s_or_b32 exec_lo, exec_lo, s17
	s_and_saveexec_b32 s17, s10
	s_cbranch_execz .LBB37_42
.LBB37_58:                              ;   in Loop: Header=BB37_31 Depth=1
	ds_load_b32 v8, v1 offset:16424
	s_wait_dscnt 0x0
	v_add_nc_u32_e32 v7, v8, v7
	s_or_b32 exec_lo, exec_lo, s17
	s_and_saveexec_b32 s17, s11
	s_cbranch_execz .LBB37_43
.LBB37_59:                              ;   in Loop: Header=BB37_31 Depth=1
	ds_load_b32 v8, v1 offset:16428
	s_wait_dscnt 0x0
	v_add_nc_u32_e32 v7, v8, v7
	s_or_b32 exec_lo, exec_lo, s17
	s_and_saveexec_b32 s17, s12
	s_cbranch_execz .LBB37_44
.LBB37_60:                              ;   in Loop: Header=BB37_31 Depth=1
	ds_load_b32 v8, v1 offset:16432
	s_wait_dscnt 0x0
	v_add_nc_u32_e32 v7, v8, v7
	s_or_b32 exec_lo, exec_lo, s17
	s_and_saveexec_b32 s17, s13
	s_cbranch_execz .LBB37_45
.LBB37_61:                              ;   in Loop: Header=BB37_31 Depth=1
	ds_load_b32 v8, v1 offset:16436
	s_wait_dscnt 0x0
	v_add_nc_u32_e32 v7, v8, v7
	s_or_b32 exec_lo, exec_lo, s17
	s_and_saveexec_b32 s17, s14
	s_cbranch_execz .LBB37_46
.LBB37_62:                              ;   in Loop: Header=BB37_31 Depth=1
	ds_load_b32 v8, v1 offset:16440
	s_wait_dscnt 0x0
	v_add_nc_u32_e32 v7, v8, v7
	s_or_b32 exec_lo, exec_lo, s17
	s_and_saveexec_b32 s17, s15
	s_cbranch_execz .LBB37_47
.LBB37_63:                              ;   in Loop: Header=BB37_31 Depth=1
	s_delay_alu instid0(VALU_DEP_1) | instskip(NEXT) | instid1(VALU_DEP_1)
	v_dual_lshlrev_b32 v8, 2, v5 :: v_dual_lshlrev_b32 v9, 2, v7
	v_add_nc_u32_e32 v8, 0, v8
	s_delay_alu instid0(VALU_DEP_1)
	v_add3_u32 v8, v8, v9, -4
	ds_store_b32 v8, v6
	s_or_b32 exec_lo, exec_lo, s17
	s_and_saveexec_b32 s15, vcc_lo
	s_cbranch_execz .LBB37_30
.LBB37_64:                              ;   in Loop: Header=BB37_31 Depth=1
	ds_store_b32 v1, v7 offset:16444
	s_branch .LBB37_30
.LBB37_65:
	s_or_b32 exec_lo, exec_lo, s16
	s_ashr_i32 s25, s24, 31
	s_delay_alu instid0(SALU_CYCLE_1) | instskip(NEXT) | instid1(SALU_CYCLE_1)
	s_lshl_b64 s[0:1], s[24:25], 3
	s_add_nc_u64 s[4:5], s[20:21], s[0:1]
	s_load_b128 s[0:3], s[4:5], 0x0
	s_wait_xcnt 0x0
	s_mov_b32 s4, exec_lo
	s_wait_kmcnt 0x0
	s_sub_co_i32 s3, s2, s0
	s_delay_alu instid0(SALU_CYCLE_1)
	v_cmpx_gt_i32_e64 s3, v0
	s_cbranch_execz .LBB37_75
; %bb.66:
	s_sub_co_i32 s4, s0, s2
	s_and_b32 s2, s3, 7
	s_cmp_lt_u32 s4, -7
	s_mov_b32 s19, 0
	s_cselect_b32 s4, -1, 0
	s_and_b32 s5, s3, -8
	s_cmp_lg_u32 s2, 0
	s_sub_nc_u64 s[0:1], s[0:1], s[18:19]
	s_cselect_b32 s6, -1, 0
	s_mov_b32 s7, 0
	s_branch .LBB37_68
.LBB37_67:                              ;   in Loop: Header=BB37_68 Depth=1
	v_add_nc_u32_e32 v0, 0x400, v0
	s_wait_dscnt 0x0
	v_add_nc_u32_e32 v1, s18, v1
	s_delay_alu instid0(VALU_DEP_3) | instskip(NEXT) | instid1(VALU_DEP_3)
	v_lshl_add_u64 v[2:3], v[2:3], 2, s[22:23]
	v_cmp_le_i32_e32 vcc_lo, s3, v0
	global_store_b32 v[2:3], v1, off
	s_or_b32 s7, vcc_lo, s7
	s_wait_xcnt 0x0
	s_and_not1_b32 exec_lo, exec_lo, s7
	s_cbranch_execz .LBB37_75
.LBB37_68:                              ; =>This Loop Header: Depth=1
                                        ;     Child Loop BB37_70 Depth 2
                                        ;     Child Loop BB37_74 Depth 2
	v_lshl_add_u32 v1, v0, 2, 0
	v_mov_b64_e32 v[2:3], s[0:1]
	s_and_not1_b32 vcc_lo, exec_lo, s4
	s_mov_b32 s8, 0
	ds_load_b32 v1, v1
	s_cbranch_vccnz .LBB37_72
; %bb.69:                               ;   in Loop: Header=BB37_68 Depth=1
	v_mov_b64_e32 v[2:3], s[0:1]
	s_mov_b32 s9, 0
.LBB37_70:                              ;   Parent Loop BB37_68 Depth=1
                                        ; =>  This Inner Loop Header: Depth=2
	s_delay_alu instid0(SALU_CYCLE_1)
	v_dual_mov_b32 v8, s9 :: v_dual_mov_b32 v9, s19
	v_mov_b32_e32 v15, s19
	s_add_co_i32 s8, s8, 8
	s_add_co_i32 s9, s9, 32
	ds_load_2addr_b32 v[4:5], v8 offset1:1
	ds_load_2addr_b32 v[6:7], v8 offset0:2 offset1:3
	ds_load_2addr_b32 v[10:11], v8 offset0:4 offset1:5
	;; [unrolled: 1-line block ×3, first 2 shown]
	s_cmp_eq_u32 s5, s8
	s_wait_dscnt 0x3
	v_cmp_gt_i32_e32 vcc_lo, v1, v4
	v_cndmask_b32_e64 v8, 0, 1, vcc_lo
	v_cmp_gt_i32_e32 vcc_lo, v1, v5
	v_mov_b32_e32 v5, s19
	s_delay_alu instid0(VALU_DEP_3) | instskip(SKIP_4) | instid1(VALU_DEP_3)
	v_add_nc_u64_e32 v[2:3], v[2:3], v[8:9]
	v_cndmask_b32_e64 v14, 0, 1, vcc_lo
	s_wait_dscnt 0x2
	v_cmp_gt_i32_e32 vcc_lo, v1, v6
	v_cndmask_b32_e64 v4, 0, 1, vcc_lo
	v_add_nc_u64_e32 v[2:3], v[2:3], v[14:15]
	v_cmp_gt_i32_e32 vcc_lo, v1, v7
	v_mov_b32_e32 v7, s19
	v_cndmask_b32_e64 v8, 0, 1, vcc_lo
	s_delay_alu instid0(VALU_DEP_4) | instskip(SKIP_3) | instid1(VALU_DEP_3)
	v_add_nc_u64_e32 v[2:3], v[2:3], v[4:5]
	s_wait_dscnt 0x1
	v_cmp_gt_i32_e32 vcc_lo, v1, v10
	v_cndmask_b32_e64 v4, 0, 1, vcc_lo
	v_add_nc_u64_e32 v[2:3], v[2:3], v[8:9]
	v_cmp_gt_i32_e32 vcc_lo, v1, v11
	v_cndmask_b32_e64 v6, 0, 1, vcc_lo
	s_delay_alu instid0(VALU_DEP_3) | instskip(SKIP_3) | instid1(VALU_DEP_3)
	v_add_nc_u64_e32 v[2:3], v[2:3], v[4:5]
	s_wait_dscnt 0x0
	v_cmp_gt_i32_e32 vcc_lo, v1, v12
	v_cndmask_b32_e64 v4, 0, 1, vcc_lo
	v_add_nc_u64_e32 v[2:3], v[2:3], v[6:7]
	v_cmp_gt_i32_e32 vcc_lo, v1, v13
	v_cndmask_b32_e64 v6, 0, 1, vcc_lo
	s_delay_alu instid0(VALU_DEP_3) | instskip(NEXT) | instid1(VALU_DEP_1)
	v_add_nc_u64_e32 v[2:3], v[2:3], v[4:5]
	v_add_nc_u64_e32 v[2:3], v[2:3], v[6:7]
	s_cbranch_scc0 .LBB37_70
; %bb.71:                               ;   in Loop: Header=BB37_68 Depth=1
	s_mov_b32 s8, s5
.LBB37_72:                              ;   in Loop: Header=BB37_68 Depth=1
	s_and_not1_b32 vcc_lo, exec_lo, s6
	s_cbranch_vccnz .LBB37_67
; %bb.73:                               ;   in Loop: Header=BB37_68 Depth=1
	s_lshl_b32 s8, s8, 2
	s_mov_b32 s9, s2
	s_add_co_i32 s8, s8, 0
.LBB37_74:                              ;   Parent Loop BB37_68 Depth=1
                                        ; =>  This Inner Loop Header: Depth=2
	s_delay_alu instid0(SALU_CYCLE_1)
	v_dual_mov_b32 v4, s8 :: v_dual_mov_b32 v5, s19
	s_add_co_i32 s9, s9, -1
	s_add_co_i32 s8, s8, 4
	s_cmp_lg_u32 s9, 0
	ds_load_b32 v4, v4
	s_wait_dscnt 0x0
	v_cmp_gt_i32_e32 vcc_lo, v1, v4
	v_cndmask_b32_e64 v4, 0, 1, vcc_lo
	s_delay_alu instid0(VALU_DEP_1)
	v_add_nc_u64_e32 v[2:3], v[2:3], v[4:5]
	s_cbranch_scc1 .LBB37_74
	s_branch .LBB37_67
.LBB37_75:
	s_endpgm
	.section	.rodata,"a",@progbits
	.p2align	6, 0x0
	.amdhsa_kernel _ZN9rocsparseL35csrgemm_symbolic_fill_block_per_rowILj1024ELj64ELj4096ELj137ELj64EliEEvT5_PKS1_S3_PKT4_S3_S6_S3_S6_S3_S6_PS1_21rocsparse_index_base_S8_S8_S8_bb
		.amdhsa_group_segment_fixed_size 0
		.amdhsa_private_segment_fixed_size 0
		.amdhsa_kernarg_size 108
		.amdhsa_user_sgpr_count 2
		.amdhsa_user_sgpr_dispatch_ptr 0
		.amdhsa_user_sgpr_queue_ptr 0
		.amdhsa_user_sgpr_kernarg_segment_ptr 1
		.amdhsa_user_sgpr_dispatch_id 0
		.amdhsa_user_sgpr_kernarg_preload_length 0
		.amdhsa_user_sgpr_kernarg_preload_offset 0
		.amdhsa_user_sgpr_private_segment_size 0
		.amdhsa_wavefront_size32 1
		.amdhsa_uses_dynamic_stack 0
		.amdhsa_enable_private_segment 0
		.amdhsa_system_sgpr_workgroup_id_x 1
		.amdhsa_system_sgpr_workgroup_id_y 0
		.amdhsa_system_sgpr_workgroup_id_z 0
		.amdhsa_system_sgpr_workgroup_info 0
		.amdhsa_system_vgpr_workitem_id 0
		.amdhsa_next_free_vgpr 18
		.amdhsa_next_free_sgpr 28
		.amdhsa_named_barrier_count 0
		.amdhsa_reserve_vcc 1
		.amdhsa_float_round_mode_32 0
		.amdhsa_float_round_mode_16_64 0
		.amdhsa_float_denorm_mode_32 3
		.amdhsa_float_denorm_mode_16_64 3
		.amdhsa_fp16_overflow 0
		.amdhsa_memory_ordered 1
		.amdhsa_forward_progress 1
		.amdhsa_inst_pref_size 22
		.amdhsa_round_robin_scheduling 0
		.amdhsa_exception_fp_ieee_invalid_op 0
		.amdhsa_exception_fp_denorm_src 0
		.amdhsa_exception_fp_ieee_div_zero 0
		.amdhsa_exception_fp_ieee_overflow 0
		.amdhsa_exception_fp_ieee_underflow 0
		.amdhsa_exception_fp_ieee_inexact 0
		.amdhsa_exception_int_div_zero 0
	.end_amdhsa_kernel
	.section	.text._ZN9rocsparseL35csrgemm_symbolic_fill_block_per_rowILj1024ELj64ELj4096ELj137ELj64EliEEvT5_PKS1_S3_PKT4_S3_S6_S3_S6_S3_S6_PS1_21rocsparse_index_base_S8_S8_S8_bb,"axG",@progbits,_ZN9rocsparseL35csrgemm_symbolic_fill_block_per_rowILj1024ELj64ELj4096ELj137ELj64EliEEvT5_PKS1_S3_PKT4_S3_S6_S3_S6_S3_S6_PS1_21rocsparse_index_base_S8_S8_S8_bb,comdat
.Lfunc_end37:
	.size	_ZN9rocsparseL35csrgemm_symbolic_fill_block_per_rowILj1024ELj64ELj4096ELj137ELj64EliEEvT5_PKS1_S3_PKT4_S3_S6_S3_S6_S3_S6_PS1_21rocsparse_index_base_S8_S8_S8_bb, .Lfunc_end37-_ZN9rocsparseL35csrgemm_symbolic_fill_block_per_rowILj1024ELj64ELj4096ELj137ELj64EliEEvT5_PKS1_S3_PKT4_S3_S6_S3_S6_S3_S6_PS1_21rocsparse_index_base_S8_S8_S8_bb
                                        ; -- End function
	.set _ZN9rocsparseL35csrgemm_symbolic_fill_block_per_rowILj1024ELj64ELj4096ELj137ELj64EliEEvT5_PKS1_S3_PKT4_S3_S6_S3_S6_S3_S6_PS1_21rocsparse_index_base_S8_S8_S8_bb.num_vgpr, 18
	.set _ZN9rocsparseL35csrgemm_symbolic_fill_block_per_rowILj1024ELj64ELj4096ELj137ELj64EliEEvT5_PKS1_S3_PKT4_S3_S6_S3_S6_S3_S6_PS1_21rocsparse_index_base_S8_S8_S8_bb.num_agpr, 0
	.set _ZN9rocsparseL35csrgemm_symbolic_fill_block_per_rowILj1024ELj64ELj4096ELj137ELj64EliEEvT5_PKS1_S3_PKT4_S3_S6_S3_S6_S3_S6_PS1_21rocsparse_index_base_S8_S8_S8_bb.numbered_sgpr, 28
	.set _ZN9rocsparseL35csrgemm_symbolic_fill_block_per_rowILj1024ELj64ELj4096ELj137ELj64EliEEvT5_PKS1_S3_PKT4_S3_S6_S3_S6_S3_S6_PS1_21rocsparse_index_base_S8_S8_S8_bb.num_named_barrier, 0
	.set _ZN9rocsparseL35csrgemm_symbolic_fill_block_per_rowILj1024ELj64ELj4096ELj137ELj64EliEEvT5_PKS1_S3_PKT4_S3_S6_S3_S6_S3_S6_PS1_21rocsparse_index_base_S8_S8_S8_bb.private_seg_size, 0
	.set _ZN9rocsparseL35csrgemm_symbolic_fill_block_per_rowILj1024ELj64ELj4096ELj137ELj64EliEEvT5_PKS1_S3_PKT4_S3_S6_S3_S6_S3_S6_PS1_21rocsparse_index_base_S8_S8_S8_bb.uses_vcc, 1
	.set _ZN9rocsparseL35csrgemm_symbolic_fill_block_per_rowILj1024ELj64ELj4096ELj137ELj64EliEEvT5_PKS1_S3_PKT4_S3_S6_S3_S6_S3_S6_PS1_21rocsparse_index_base_S8_S8_S8_bb.uses_flat_scratch, 0
	.set _ZN9rocsparseL35csrgemm_symbolic_fill_block_per_rowILj1024ELj64ELj4096ELj137ELj64EliEEvT5_PKS1_S3_PKT4_S3_S6_S3_S6_S3_S6_PS1_21rocsparse_index_base_S8_S8_S8_bb.has_dyn_sized_stack, 0
	.set _ZN9rocsparseL35csrgemm_symbolic_fill_block_per_rowILj1024ELj64ELj4096ELj137ELj64EliEEvT5_PKS1_S3_PKT4_S3_S6_S3_S6_S3_S6_PS1_21rocsparse_index_base_S8_S8_S8_bb.has_recursion, 0
	.set _ZN9rocsparseL35csrgemm_symbolic_fill_block_per_rowILj1024ELj64ELj4096ELj137ELj64EliEEvT5_PKS1_S3_PKT4_S3_S6_S3_S6_S3_S6_PS1_21rocsparse_index_base_S8_S8_S8_bb.has_indirect_call, 0
	.section	.AMDGPU.csdata,"",@progbits
; Kernel info:
; codeLenInByte = 2744
; TotalNumSgprs: 30
; NumVgprs: 18
; ScratchSize: 0
; MemoryBound: 0
; FloatMode: 240
; IeeeMode: 1
; LDSByteSize: 0 bytes/workgroup (compile time only)
; SGPRBlocks: 0
; VGPRBlocks: 1
; NumSGPRsForWavesPerEU: 30
; NumVGPRsForWavesPerEU: 18
; NamedBarCnt: 0
; Occupancy: 16
; WaveLimiterHint : 1
; COMPUTE_PGM_RSRC2:SCRATCH_EN: 0
; COMPUTE_PGM_RSRC2:USER_SGPR: 2
; COMPUTE_PGM_RSRC2:TRAP_HANDLER: 0
; COMPUTE_PGM_RSRC2:TGID_X_EN: 1
; COMPUTE_PGM_RSRC2:TGID_Y_EN: 0
; COMPUTE_PGM_RSRC2:TGID_Z_EN: 0
; COMPUTE_PGM_RSRC2:TIDIG_COMP_CNT: 0
	.section	.text._ZN9rocsparseL35csrgemm_symbolic_fill_block_per_rowILj1024ELj64ELj8192ELj137ELj32EliEEvT5_PKS1_S3_PKT4_S3_S6_S3_S6_S3_S6_PS1_21rocsparse_index_base_S8_S8_S8_bb,"axG",@progbits,_ZN9rocsparseL35csrgemm_symbolic_fill_block_per_rowILj1024ELj64ELj8192ELj137ELj32EliEEvT5_PKS1_S3_PKT4_S3_S6_S3_S6_S3_S6_PS1_21rocsparse_index_base_S8_S8_S8_bb,comdat
	.globl	_ZN9rocsparseL35csrgemm_symbolic_fill_block_per_rowILj1024ELj64ELj8192ELj137ELj32EliEEvT5_PKS1_S3_PKT4_S3_S6_S3_S6_S3_S6_PS1_21rocsparse_index_base_S8_S8_S8_bb ; -- Begin function _ZN9rocsparseL35csrgemm_symbolic_fill_block_per_rowILj1024ELj64ELj8192ELj137ELj32EliEEvT5_PKS1_S3_PKT4_S3_S6_S3_S6_S3_S6_PS1_21rocsparse_index_base_S8_S8_S8_bb
	.p2align	8
	.type	_ZN9rocsparseL35csrgemm_symbolic_fill_block_per_rowILj1024ELj64ELj8192ELj137ELj32EliEEvT5_PKS1_S3_PKT4_S3_S6_S3_S6_S3_S6_PS1_21rocsparse_index_base_S8_S8_S8_bb,@function
_ZN9rocsparseL35csrgemm_symbolic_fill_block_per_rowILj1024ELj64ELj8192ELj137ELj32EliEEvT5_PKS1_S3_PKT4_S3_S6_S3_S6_S3_S6_PS1_21rocsparse_index_base_S8_S8_S8_bb: ; @_ZN9rocsparseL35csrgemm_symbolic_fill_block_per_rowILj1024ELj64ELj8192ELj137ELj32EliEEvT5_PKS1_S3_PKT4_S3_S6_S3_S6_S3_S6_PS1_21rocsparse_index_base_S8_S8_S8_bb
; %bb.0:
	s_clause 0x1
	s_load_b32 s33, s[0:1], 0x0
	s_load_b128 s[4:7], s[0:1], 0x8
	v_lshl_add_u32 v10, v0, 2, 0
	s_bfe_u32 s3, ttmp6, 0x4000c
	s_load_b32 s12, s[0:1], 0x68
	s_add_co_i32 s3, s3, 1
	s_delay_alu instid0(SALU_CYCLE_1)
	s_mul_i32 s3, ttmp9, s3
	s_wait_kmcnt 0x0
	v_dual_mov_b32 v1, s33 :: v_dual_mov_b32 v2, s33
	v_dual_mov_b32 v3, s33 :: v_dual_mov_b32 v4, s33
	;; [unrolled: 1-line block ×4, first 2 shown]
	ds_store_2addr_stride64_b32 v10, v1, v2 offset1:16
	ds_store_2addr_stride64_b32 v10, v3, v4 offset0:32 offset1:48
	ds_store_2addr_stride64_b32 v10, v5, v6 offset0:64 offset1:80
	;; [unrolled: 1-line block ×3, first 2 shown]
	s_wait_dscnt 0x0
	s_barrier_signal -1
	s_barrier_wait -1
	s_load_b32 s2, s[4:5], 0x0
	s_wait_xcnt 0x0
	s_and_b32 s4, ttmp6, 15
	s_getreg_b32 s5, hwreg(HW_REG_IB_STS2, 6, 4)
	s_add_co_i32 s4, s4, s3
	s_cmp_eq_u32 s5, 0
	s_cselect_b32 s3, ttmp9, s4
	s_wait_kmcnt 0x0
	s_add_co_i32 s2, s2, s3
	s_load_b128 s[36:39], s[0:1], 0x58
	s_load_b32 s34, s[6:7], s2 offset:0x0 scale_offset
	s_bitcmp0_b32 s12, 0
	s_mov_b32 s3, 0
	s_cbranch_scc1 .LBB38_16
; %bb.1:
	s_load_b64 s[4:5], s[0:1], 0x18
	s_wait_kmcnt 0x0
	s_ashr_i32 s35, s34, 31
	v_dual_mov_b32 v5, 0 :: v_dual_lshrrev_b32 v4, 6, v0
	s_lshl_b64 s[6:7], s[34:35], 3
	s_mov_b32 s2, s36
	s_mov_b32 s13, exec_lo
	s_delay_alu instid0(VALU_DEP_1) | instskip(SKIP_3) | instid1(VALU_DEP_1)
	v_sub_nc_u64_e64 v[2:3], v[4:5], s[2:3]
	s_add_nc_u64 s[8:9], s[4:5], s[6:7]
	s_load_b128 s[4:7], s[8:9], 0x0
	s_wait_kmcnt 0x0
	v_add_nc_u64_e32 v[2:3], s[4:5], v[2:3]
	s_sub_nc_u64 s[2:3], s[6:7], s[2:3]
	s_delay_alu instid0(VALU_DEP_1) | instid1(SALU_CYCLE_1)
	v_cmpx_gt_i64_e64 s[2:3], v[2:3]
	s_cbranch_execz .LBB38_15
; %bb.2:
	s_clause 0x1
	s_load_b128 s[4:7], s[0:1], 0x20
	s_load_b64 s[8:9], s[0:1], 0x30
	v_and_b32_e32 v4, 63, v0
	s_mov_b32 s11, 0
	s_mov_b32 s10, s37
	;; [unrolled: 1-line block ×3, first 2 shown]
	s_delay_alu instid0(VALU_DEP_1)
	v_sub_nc_u64_e64 v[4:5], v[4:5], s[10:11]
	s_branch .LBB38_4
.LBB38_3:                               ;   in Loop: Header=BB38_4 Depth=1
	s_or_b32 exec_lo, exec_lo, s15
	v_add_nc_u64_e32 v[2:3], 16, v[2:3]
	s_delay_alu instid0(VALU_DEP_1) | instskip(SKIP_1) | instid1(SALU_CYCLE_1)
	v_cmp_le_i64_e32 vcc_lo, s[2:3], v[2:3]
	s_or_b32 s14, vcc_lo, s14
	s_and_not1_b32 exec_lo, exec_lo, s14
	s_cbranch_execz .LBB38_15
.LBB38_4:                               ; =>This Loop Header: Depth=1
                                        ;     Child Loop BB38_7 Depth 2
                                        ;       Child Loop BB38_10 Depth 3
	s_wait_kmcnt 0x0
	v_lshl_add_u64 v[6:7], v[2:3], 2, s[4:5]
	s_mov_b32 s15, exec_lo
	global_load_b32 v1, v[6:7], off
	s_wait_loadcnt 0x0
	v_subrev_nc_u32_e32 v6, s36, v1
	s_delay_alu instid0(VALU_DEP_1) | instskip(NEXT) | instid1(VALU_DEP_1)
	v_ashrrev_i32_e32 v7, 31, v6
	v_lshl_add_u64 v[6:7], v[6:7], 3, s[6:7]
	global_load_b128 v[12:15], v[6:7], off
	s_wait_loadcnt 0x0
	v_sub_nc_u64_e64 v[6:7], v[14:15], s[10:11]
	v_add_nc_u64_e32 v[8:9], v[12:13], v[4:5]
	s_delay_alu instid0(VALU_DEP_1)
	v_cmpx_lt_i64_e64 v[8:9], v[6:7]
	s_cbranch_execz .LBB38_3
; %bb.5:                                ;   in Loop: Header=BB38_4 Depth=1
	s_mov_b32 s16, 0
	s_branch .LBB38_7
.LBB38_6:                               ;   in Loop: Header=BB38_7 Depth=2
	s_or_b32 exec_lo, exec_lo, s17
	v_add_nc_u64_e32 v[8:9], 64, v[8:9]
	s_delay_alu instid0(VALU_DEP_1) | instskip(SKIP_1) | instid1(SALU_CYCLE_1)
	v_cmp_ge_i64_e32 vcc_lo, v[8:9], v[6:7]
	s_or_b32 s16, vcc_lo, s16
	s_and_not1_b32 exec_lo, exec_lo, s16
	s_cbranch_execz .LBB38_3
.LBB38_7:                               ;   Parent Loop BB38_4 Depth=1
                                        ; =>  This Loop Header: Depth=2
                                        ;       Child Loop BB38_10 Depth 3
	v_lshl_add_u64 v[12:13], v[8:9], 2, s[8:9]
	s_mov_b32 s17, 0
                                        ; implicit-def: $sgpr18
	global_load_b32 v1, v[12:13], off
	s_wait_loadcnt 0x0
	v_subrev_nc_u32_e32 v1, s37, v1
	s_delay_alu instid0(VALU_DEP_1) | instskip(NEXT) | instid1(VALU_DEP_1)
	v_mul_lo_u32 v11, 0x89, v1
	v_and_b32_e32 v11, 0x1fff, v11
	s_branch .LBB38_10
.LBB38_8:                               ;   in Loop: Header=BB38_10 Depth=3
	s_or_b32 exec_lo, exec_lo, s20
	s_delay_alu instid0(SALU_CYCLE_1) | instskip(SKIP_1) | instid1(SALU_CYCLE_1)
	s_and_not1_b32 s18, s18, exec_lo
	s_and_b32 s20, s21, exec_lo
	s_or_b32 s18, s18, s20
.LBB38_9:                               ;   in Loop: Header=BB38_10 Depth=3
	s_or_b32 exec_lo, exec_lo, s19
	s_xor_b32 s19, s18, -1
	s_delay_alu instid0(SALU_CYCLE_1) | instskip(NEXT) | instid1(SALU_CYCLE_1)
	s_and_b32 s19, exec_lo, s19
	s_or_b32 s17, s19, s17
	s_delay_alu instid0(SALU_CYCLE_1)
	s_and_not1_b32 exec_lo, exec_lo, s17
	s_cbranch_execz .LBB38_6
.LBB38_10:                              ;   Parent Loop BB38_4 Depth=1
                                        ;     Parent Loop BB38_7 Depth=2
                                        ; =>    This Inner Loop Header: Depth=3
	s_delay_alu instid0(VALU_DEP_1)
	v_lshl_add_u32 v12, v11, 2, 0
	s_and_not1_b32 s18, s18, exec_lo
	s_mov_b32 s19, exec_lo
	ds_load_b32 v13, v12
	s_wait_dscnt 0x0
	v_cmpx_ne_u32_e64 v13, v1
	s_cbranch_execz .LBB38_9
; %bb.11:                               ;   in Loop: Header=BB38_10 Depth=3
	s_mov_b32 s20, exec_lo
	v_cmpx_ne_u32_e64 s33, v13
	s_xor_b32 s20, exec_lo, s20
; %bb.12:                               ;   in Loop: Header=BB38_10 Depth=3
	v_add_nc_u32_e32 v11, 1, v11
                                        ; implicit-def: $vgpr12
	s_delay_alu instid0(VALU_DEP_1)
	v_and_b32_e32 v11, 0x1fff, v11
; %bb.13:                               ;   in Loop: Header=BB38_10 Depth=3
	s_or_saveexec_b32 s20, s20
	s_mov_b32 s21, -1
	s_xor_b32 exec_lo, exec_lo, s20
	s_cbranch_execz .LBB38_8
; %bb.14:                               ;   in Loop: Header=BB38_10 Depth=3
	v_mov_b32_e32 v13, s33
	ds_cmpstore_rtn_b32 v12, v12, v1, v13
	s_wait_dscnt 0x0
	v_cmp_ne_u32_e32 vcc_lo, s33, v12
	s_or_not1_b32 s21, vcc_lo, exec_lo
	s_branch .LBB38_8
.LBB38_15:
	s_or_b32 exec_lo, exec_lo, s13
.LBB38_16:
	s_wait_xcnt 0x0
	s_bfe_u32 s2, s12, 0x10008
	s_delay_alu instid0(SALU_CYCLE_1)
	s_cmp_eq_u32 s2, 0
	s_cbranch_scc1 .LBB38_29
; %bb.17:
	s_load_b64 s[2:3], s[0:1], 0x38
	s_wait_kmcnt 0x0
	s_ashr_i32 s35, s34, 31
	v_mov_b32_e32 v1, 0
	s_lshl_b64 s[4:5], s[34:35], 3
	s_delay_alu instid0(SALU_CYCLE_1) | instskip(SKIP_4) | instid1(SALU_CYCLE_1)
	s_add_nc_u64 s[2:3], s[2:3], s[4:5]
	s_load_b128 s[4:7], s[2:3], 0x0
	s_wait_xcnt 0x0
	s_mov_b32 s3, 0
	s_mov_b32 s2, s39
	v_sub_nc_u64_e64 v[2:3], v[0:1], s[2:3]
	s_wait_kmcnt 0x0
	s_delay_alu instid0(VALU_DEP_1) | instskip(SKIP_2) | instid1(VALU_DEP_1)
	v_add_nc_u64_e32 v[2:3], s[4:5], v[2:3]
	s_sub_nc_u64 s[4:5], s[6:7], s[2:3]
	s_mov_b32 s2, exec_lo
	v_cmpx_gt_i64_e64 s[4:5], v[2:3]
	s_cbranch_execz .LBB38_28
; %bb.18:
	s_load_b64 s[6:7], s[0:1], 0x40
	s_branch .LBB38_20
.LBB38_19:                              ;   in Loop: Header=BB38_20 Depth=1
	s_or_b32 exec_lo, exec_lo, s8
	v_add_nc_u64_e32 v[2:3], 0x400, v[2:3]
	s_delay_alu instid0(VALU_DEP_1) | instskip(SKIP_1) | instid1(SALU_CYCLE_1)
	v_cmp_le_i64_e32 vcc_lo, s[4:5], v[2:3]
	s_or_b32 s3, vcc_lo, s3
	s_and_not1_b32 exec_lo, exec_lo, s3
	s_cbranch_execz .LBB38_28
.LBB38_20:                              ; =>This Loop Header: Depth=1
                                        ;     Child Loop BB38_23 Depth 2
	s_wait_kmcnt 0x0
	v_lshl_add_u64 v[4:5], v[2:3], 2, s[6:7]
	s_mov_b32 s8, 0
                                        ; implicit-def: $sgpr9
	global_load_b32 v1, v[4:5], off
	s_wait_loadcnt 0x0
	v_subrev_nc_u32_e32 v1, s39, v1
	s_delay_alu instid0(VALU_DEP_1) | instskip(NEXT) | instid1(VALU_DEP_1)
	v_mul_lo_u32 v4, 0x89, v1
	v_and_b32_e32 v4, 0x1fff, v4
	s_branch .LBB38_23
.LBB38_21:                              ;   in Loop: Header=BB38_23 Depth=2
	s_or_b32 exec_lo, exec_lo, s11
	s_delay_alu instid0(SALU_CYCLE_1) | instskip(SKIP_1) | instid1(SALU_CYCLE_1)
	s_and_not1_b32 s9, s9, exec_lo
	s_and_b32 s11, s12, exec_lo
	s_or_b32 s9, s9, s11
.LBB38_22:                              ;   in Loop: Header=BB38_23 Depth=2
	s_or_b32 exec_lo, exec_lo, s10
	s_xor_b32 s10, s9, -1
	s_delay_alu instid0(SALU_CYCLE_1) | instskip(NEXT) | instid1(SALU_CYCLE_1)
	s_and_b32 s10, exec_lo, s10
	s_or_b32 s8, s10, s8
	s_delay_alu instid0(SALU_CYCLE_1)
	s_and_not1_b32 exec_lo, exec_lo, s8
	s_cbranch_execz .LBB38_19
.LBB38_23:                              ;   Parent Loop BB38_20 Depth=1
                                        ; =>  This Inner Loop Header: Depth=2
	s_delay_alu instid0(VALU_DEP_1)
	v_lshl_add_u32 v5, v4, 2, 0
	s_and_not1_b32 s9, s9, exec_lo
	s_mov_b32 s10, exec_lo
	ds_load_b32 v6, v5
	s_wait_dscnt 0x0
	v_cmpx_ne_u32_e64 v6, v1
	s_cbranch_execz .LBB38_22
; %bb.24:                               ;   in Loop: Header=BB38_23 Depth=2
	s_mov_b32 s11, exec_lo
	v_cmpx_ne_u32_e64 s33, v6
	s_xor_b32 s11, exec_lo, s11
; %bb.25:                               ;   in Loop: Header=BB38_23 Depth=2
	v_add_nc_u32_e32 v4, 1, v4
                                        ; implicit-def: $vgpr5
	s_delay_alu instid0(VALU_DEP_1)
	v_and_b32_e32 v4, 0x1fff, v4
; %bb.26:                               ;   in Loop: Header=BB38_23 Depth=2
	s_or_saveexec_b32 s11, s11
	s_mov_b32 s12, -1
	s_xor_b32 exec_lo, exec_lo, s11
	s_cbranch_execz .LBB38_21
; %bb.27:                               ;   in Loop: Header=BB38_23 Depth=2
	v_mov_b32_e32 v6, s33
	ds_cmpstore_rtn_b32 v5, v5, v1, v6
	s_wait_dscnt 0x0
	v_cmp_ne_u32_e32 vcc_lo, s33, v5
	s_or_not1_b32 s12, vcc_lo, exec_lo
	s_branch .LBB38_21
.LBB38_28:
	s_or_b32 exec_lo, exec_lo, s2
.LBB38_29:
	s_load_b128 s[40:43], s[0:1], 0x48
	v_mbcnt_lo_u32_b32 v1, -1, 0
	v_lshrrev_b32_e32 v2, 3, v0
	s_wait_xcnt 0x0
	v_cmp_lt_u32_e64 s0, 31, v0
	v_cmp_lt_u32_e64 s1, 63, v0
	;; [unrolled: 1-line block ×3, first 2 shown]
	v_xor_b32_e32 v3, 31, v1
	v_and_b32_e32 v4, 0x7c, v2
	v_mov_b32_e32 v1, 0
	v_cmp_lt_u32_e64 s3, 0x7f, v0
	v_cmp_lt_u32_e64 s4, 0x9f, v0
	v_lshrrev_b32_e64 v2, v3, -1
	v_add_nc_u32_e32 v3, 0, v4
	v_cmp_lt_u32_e64 s5, 0xbf, v0
	v_cmp_lt_u32_e64 s6, 0xdf, v0
	;; [unrolled: 1-line block ×26, first 2 shown]
	v_or_b32_e32 v4, 0xfffffc00, v0
	v_mov_b32_e32 v5, 0
	s_mov_b32 s35, 0
	v_cmp_eq_u32_e32 vcc_lo, 0x3ff, v0
	s_barrier_signal -1
	s_barrier_wait -1
	s_branch .LBB38_31
.LBB38_30:                              ;   in Loop: Header=BB38_31 Depth=1
	s_or_b32 exec_lo, exec_lo, s31
	s_wait_dscnt 0x0
	s_barrier_signal -1
	s_barrier_wait -1
	ds_load_b32 v6, v1 offset:32892
	v_add_nc_u32_e32 v4, 0x400, v4
	v_add_nc_u32_e32 v10, 0x1000, v10
	s_delay_alu instid0(VALU_DEP_2)
	v_cmp_lt_u32_e64 s31, 0x1bff, v4
	s_or_b32 s35, s31, s35
	s_wait_dscnt 0x0
	v_add_nc_u32_e32 v5, v6, v5
	s_and_not1_b32 exec_lo, exec_lo, s35
	s_cbranch_execz .LBB38_97
.LBB38_31:                              ; =>This Inner Loop Header: Depth=1
	ds_load_b32 v6, v10
	s_wait_dscnt 0x0
	s_barrier_signal -1
	s_barrier_wait -1
	v_cmp_gt_i32_e64 s31, s33, v6
	s_wait_kmcnt 0x0
	s_bcnt1_i32_b32 s36, s31
	s_delay_alu instid0(SALU_CYCLE_1) | instskip(NEXT) | instid1(VALU_DEP_1)
	v_dual_mov_b32 v8, s36 :: v_dual_bitop2_b32 v7, s31, v2 bitop3:0x40
	v_bcnt_u32_b32 v7, v7, 0
	ds_store_b32 v3, v8 offset:32768
	s_wait_dscnt 0x0
	s_barrier_signal -1
	s_barrier_wait -1
	s_and_saveexec_b32 s36, s0
	s_cbranch_execnz .LBB38_64
; %bb.32:                               ;   in Loop: Header=BB38_31 Depth=1
	s_or_b32 exec_lo, exec_lo, s36
	s_and_saveexec_b32 s36, s1
	s_cbranch_execnz .LBB38_65
.LBB38_33:                              ;   in Loop: Header=BB38_31 Depth=1
	s_or_b32 exec_lo, exec_lo, s36
	s_and_saveexec_b32 s36, s2
	s_cbranch_execnz .LBB38_66
.LBB38_34:                              ;   in Loop: Header=BB38_31 Depth=1
	s_or_b32 exec_lo, exec_lo, s36
	s_and_saveexec_b32 s36, s3
	s_cbranch_execnz .LBB38_67
.LBB38_35:                              ;   in Loop: Header=BB38_31 Depth=1
	s_or_b32 exec_lo, exec_lo, s36
	s_and_saveexec_b32 s36, s4
	s_cbranch_execnz .LBB38_68
.LBB38_36:                              ;   in Loop: Header=BB38_31 Depth=1
	s_or_b32 exec_lo, exec_lo, s36
	s_and_saveexec_b32 s36, s5
	s_cbranch_execnz .LBB38_69
.LBB38_37:                              ;   in Loop: Header=BB38_31 Depth=1
	s_or_b32 exec_lo, exec_lo, s36
	s_and_saveexec_b32 s36, s6
	s_cbranch_execnz .LBB38_70
.LBB38_38:                              ;   in Loop: Header=BB38_31 Depth=1
	s_or_b32 exec_lo, exec_lo, s36
	s_and_saveexec_b32 s36, s7
	s_cbranch_execnz .LBB38_71
.LBB38_39:                              ;   in Loop: Header=BB38_31 Depth=1
	s_or_b32 exec_lo, exec_lo, s36
	s_and_saveexec_b32 s36, s8
	s_cbranch_execnz .LBB38_72
.LBB38_40:                              ;   in Loop: Header=BB38_31 Depth=1
	s_or_b32 exec_lo, exec_lo, s36
	s_and_saveexec_b32 s36, s9
	s_cbranch_execnz .LBB38_73
.LBB38_41:                              ;   in Loop: Header=BB38_31 Depth=1
	s_or_b32 exec_lo, exec_lo, s36
	s_and_saveexec_b32 s36, s10
	s_cbranch_execnz .LBB38_74
.LBB38_42:                              ;   in Loop: Header=BB38_31 Depth=1
	s_or_b32 exec_lo, exec_lo, s36
	s_and_saveexec_b32 s36, s11
	s_cbranch_execnz .LBB38_75
.LBB38_43:                              ;   in Loop: Header=BB38_31 Depth=1
	s_or_b32 exec_lo, exec_lo, s36
	s_and_saveexec_b32 s36, s12
	s_cbranch_execnz .LBB38_76
.LBB38_44:                              ;   in Loop: Header=BB38_31 Depth=1
	s_or_b32 exec_lo, exec_lo, s36
	s_and_saveexec_b32 s36, s13
	s_cbranch_execnz .LBB38_77
.LBB38_45:                              ;   in Loop: Header=BB38_31 Depth=1
	s_or_b32 exec_lo, exec_lo, s36
	s_and_saveexec_b32 s36, s14
	s_cbranch_execnz .LBB38_78
.LBB38_46:                              ;   in Loop: Header=BB38_31 Depth=1
	s_or_b32 exec_lo, exec_lo, s36
	s_and_saveexec_b32 s36, s15
	s_cbranch_execnz .LBB38_79
.LBB38_47:                              ;   in Loop: Header=BB38_31 Depth=1
	s_or_b32 exec_lo, exec_lo, s36
	s_and_saveexec_b32 s36, s16
	s_cbranch_execnz .LBB38_80
.LBB38_48:                              ;   in Loop: Header=BB38_31 Depth=1
	s_or_b32 exec_lo, exec_lo, s36
	s_and_saveexec_b32 s36, s17
	s_cbranch_execnz .LBB38_81
.LBB38_49:                              ;   in Loop: Header=BB38_31 Depth=1
	s_or_b32 exec_lo, exec_lo, s36
	s_and_saveexec_b32 s36, s18
	s_cbranch_execnz .LBB38_82
.LBB38_50:                              ;   in Loop: Header=BB38_31 Depth=1
	s_or_b32 exec_lo, exec_lo, s36
	s_and_saveexec_b32 s36, s19
	s_cbranch_execnz .LBB38_83
.LBB38_51:                              ;   in Loop: Header=BB38_31 Depth=1
	s_or_b32 exec_lo, exec_lo, s36
	s_and_saveexec_b32 s36, s20
	s_cbranch_execnz .LBB38_84
.LBB38_52:                              ;   in Loop: Header=BB38_31 Depth=1
	s_or_b32 exec_lo, exec_lo, s36
	s_and_saveexec_b32 s36, s21
	s_cbranch_execnz .LBB38_85
.LBB38_53:                              ;   in Loop: Header=BB38_31 Depth=1
	s_or_b32 exec_lo, exec_lo, s36
	s_and_saveexec_b32 s36, s22
	s_cbranch_execnz .LBB38_86
.LBB38_54:                              ;   in Loop: Header=BB38_31 Depth=1
	s_or_b32 exec_lo, exec_lo, s36
	s_and_saveexec_b32 s36, s23
	s_cbranch_execnz .LBB38_87
.LBB38_55:                              ;   in Loop: Header=BB38_31 Depth=1
	s_or_b32 exec_lo, exec_lo, s36
	s_and_saveexec_b32 s36, s24
	s_cbranch_execnz .LBB38_88
.LBB38_56:                              ;   in Loop: Header=BB38_31 Depth=1
	s_or_b32 exec_lo, exec_lo, s36
	s_and_saveexec_b32 s36, s25
	s_cbranch_execnz .LBB38_89
.LBB38_57:                              ;   in Loop: Header=BB38_31 Depth=1
	s_or_b32 exec_lo, exec_lo, s36
	s_and_saveexec_b32 s36, s26
	s_cbranch_execnz .LBB38_90
.LBB38_58:                              ;   in Loop: Header=BB38_31 Depth=1
	s_or_b32 exec_lo, exec_lo, s36
	s_and_saveexec_b32 s36, s27
	s_cbranch_execnz .LBB38_91
.LBB38_59:                              ;   in Loop: Header=BB38_31 Depth=1
	s_or_b32 exec_lo, exec_lo, s36
	s_and_saveexec_b32 s36, s28
	s_cbranch_execnz .LBB38_92
.LBB38_60:                              ;   in Loop: Header=BB38_31 Depth=1
	s_or_b32 exec_lo, exec_lo, s36
	s_and_saveexec_b32 s36, s29
	s_cbranch_execnz .LBB38_93
.LBB38_61:                              ;   in Loop: Header=BB38_31 Depth=1
	s_or_b32 exec_lo, exec_lo, s36
	s_and_saveexec_b32 s36, s30
	s_cbranch_execnz .LBB38_94
.LBB38_62:                              ;   in Loop: Header=BB38_31 Depth=1
	s_or_b32 exec_lo, exec_lo, s36
	s_and_saveexec_b32 s36, s31
	s_cbranch_execnz .LBB38_95
.LBB38_63:                              ;   in Loop: Header=BB38_31 Depth=1
	s_or_b32 exec_lo, exec_lo, s36
	s_and_saveexec_b32 s31, vcc_lo
	s_cbranch_execz .LBB38_30
	s_branch .LBB38_96
.LBB38_64:                              ;   in Loop: Header=BB38_31 Depth=1
	ds_load_b32 v8, v1 offset:32768
	s_wait_dscnt 0x0
	v_add_nc_u32_e32 v7, v8, v7
	s_or_b32 exec_lo, exec_lo, s36
	s_and_saveexec_b32 s36, s1
	s_cbranch_execz .LBB38_33
.LBB38_65:                              ;   in Loop: Header=BB38_31 Depth=1
	ds_load_b32 v8, v1 offset:32772
	s_wait_dscnt 0x0
	v_add_nc_u32_e32 v7, v8, v7
	s_or_b32 exec_lo, exec_lo, s36
	s_and_saveexec_b32 s36, s2
	s_cbranch_execz .LBB38_34
.LBB38_66:                              ;   in Loop: Header=BB38_31 Depth=1
	ds_load_b32 v8, v1 offset:32776
	s_wait_dscnt 0x0
	v_add_nc_u32_e32 v7, v8, v7
	s_or_b32 exec_lo, exec_lo, s36
	s_and_saveexec_b32 s36, s3
	s_cbranch_execz .LBB38_35
.LBB38_67:                              ;   in Loop: Header=BB38_31 Depth=1
	ds_load_b32 v8, v1 offset:32780
	s_wait_dscnt 0x0
	v_add_nc_u32_e32 v7, v8, v7
	s_or_b32 exec_lo, exec_lo, s36
	s_and_saveexec_b32 s36, s4
	s_cbranch_execz .LBB38_36
.LBB38_68:                              ;   in Loop: Header=BB38_31 Depth=1
	ds_load_b32 v8, v1 offset:32784
	s_wait_dscnt 0x0
	v_add_nc_u32_e32 v7, v8, v7
	s_or_b32 exec_lo, exec_lo, s36
	s_and_saveexec_b32 s36, s5
	s_cbranch_execz .LBB38_37
.LBB38_69:                              ;   in Loop: Header=BB38_31 Depth=1
	ds_load_b32 v8, v1 offset:32788
	s_wait_dscnt 0x0
	v_add_nc_u32_e32 v7, v8, v7
	s_or_b32 exec_lo, exec_lo, s36
	s_and_saveexec_b32 s36, s6
	s_cbranch_execz .LBB38_38
.LBB38_70:                              ;   in Loop: Header=BB38_31 Depth=1
	ds_load_b32 v8, v1 offset:32792
	s_wait_dscnt 0x0
	v_add_nc_u32_e32 v7, v8, v7
	s_or_b32 exec_lo, exec_lo, s36
	s_and_saveexec_b32 s36, s7
	s_cbranch_execz .LBB38_39
.LBB38_71:                              ;   in Loop: Header=BB38_31 Depth=1
	ds_load_b32 v8, v1 offset:32796
	s_wait_dscnt 0x0
	v_add_nc_u32_e32 v7, v8, v7
	s_or_b32 exec_lo, exec_lo, s36
	s_and_saveexec_b32 s36, s8
	s_cbranch_execz .LBB38_40
.LBB38_72:                              ;   in Loop: Header=BB38_31 Depth=1
	ds_load_b32 v8, v1 offset:32800
	s_wait_dscnt 0x0
	v_add_nc_u32_e32 v7, v8, v7
	s_or_b32 exec_lo, exec_lo, s36
	s_and_saveexec_b32 s36, s9
	s_cbranch_execz .LBB38_41
.LBB38_73:                              ;   in Loop: Header=BB38_31 Depth=1
	ds_load_b32 v8, v1 offset:32804
	s_wait_dscnt 0x0
	v_add_nc_u32_e32 v7, v8, v7
	s_or_b32 exec_lo, exec_lo, s36
	s_and_saveexec_b32 s36, s10
	s_cbranch_execz .LBB38_42
.LBB38_74:                              ;   in Loop: Header=BB38_31 Depth=1
	ds_load_b32 v8, v1 offset:32808
	s_wait_dscnt 0x0
	v_add_nc_u32_e32 v7, v8, v7
	s_or_b32 exec_lo, exec_lo, s36
	s_and_saveexec_b32 s36, s11
	s_cbranch_execz .LBB38_43
.LBB38_75:                              ;   in Loop: Header=BB38_31 Depth=1
	ds_load_b32 v8, v1 offset:32812
	s_wait_dscnt 0x0
	v_add_nc_u32_e32 v7, v8, v7
	s_or_b32 exec_lo, exec_lo, s36
	s_and_saveexec_b32 s36, s12
	s_cbranch_execz .LBB38_44
.LBB38_76:                              ;   in Loop: Header=BB38_31 Depth=1
	ds_load_b32 v8, v1 offset:32816
	s_wait_dscnt 0x0
	v_add_nc_u32_e32 v7, v8, v7
	s_or_b32 exec_lo, exec_lo, s36
	s_and_saveexec_b32 s36, s13
	s_cbranch_execz .LBB38_45
.LBB38_77:                              ;   in Loop: Header=BB38_31 Depth=1
	ds_load_b32 v8, v1 offset:32820
	s_wait_dscnt 0x0
	v_add_nc_u32_e32 v7, v8, v7
	s_or_b32 exec_lo, exec_lo, s36
	s_and_saveexec_b32 s36, s14
	s_cbranch_execz .LBB38_46
.LBB38_78:                              ;   in Loop: Header=BB38_31 Depth=1
	ds_load_b32 v8, v1 offset:32824
	s_wait_dscnt 0x0
	v_add_nc_u32_e32 v7, v8, v7
	s_or_b32 exec_lo, exec_lo, s36
	s_and_saveexec_b32 s36, s15
	s_cbranch_execz .LBB38_47
.LBB38_79:                              ;   in Loop: Header=BB38_31 Depth=1
	ds_load_b32 v8, v1 offset:32828
	s_wait_dscnt 0x0
	v_add_nc_u32_e32 v7, v8, v7
	s_or_b32 exec_lo, exec_lo, s36
	s_and_saveexec_b32 s36, s16
	s_cbranch_execz .LBB38_48
.LBB38_80:                              ;   in Loop: Header=BB38_31 Depth=1
	ds_load_b32 v8, v1 offset:32832
	s_wait_dscnt 0x0
	v_add_nc_u32_e32 v7, v8, v7
	s_or_b32 exec_lo, exec_lo, s36
	s_and_saveexec_b32 s36, s17
	s_cbranch_execz .LBB38_49
.LBB38_81:                              ;   in Loop: Header=BB38_31 Depth=1
	ds_load_b32 v8, v1 offset:32836
	s_wait_dscnt 0x0
	v_add_nc_u32_e32 v7, v8, v7
	s_or_b32 exec_lo, exec_lo, s36
	s_and_saveexec_b32 s36, s18
	s_cbranch_execz .LBB38_50
.LBB38_82:                              ;   in Loop: Header=BB38_31 Depth=1
	ds_load_b32 v8, v1 offset:32840
	s_wait_dscnt 0x0
	v_add_nc_u32_e32 v7, v8, v7
	s_or_b32 exec_lo, exec_lo, s36
	s_and_saveexec_b32 s36, s19
	s_cbranch_execz .LBB38_51
.LBB38_83:                              ;   in Loop: Header=BB38_31 Depth=1
	ds_load_b32 v8, v1 offset:32844
	s_wait_dscnt 0x0
	v_add_nc_u32_e32 v7, v8, v7
	s_or_b32 exec_lo, exec_lo, s36
	s_and_saveexec_b32 s36, s20
	s_cbranch_execz .LBB38_52
.LBB38_84:                              ;   in Loop: Header=BB38_31 Depth=1
	ds_load_b32 v8, v1 offset:32848
	s_wait_dscnt 0x0
	v_add_nc_u32_e32 v7, v8, v7
	s_or_b32 exec_lo, exec_lo, s36
	s_and_saveexec_b32 s36, s21
	s_cbranch_execz .LBB38_53
.LBB38_85:                              ;   in Loop: Header=BB38_31 Depth=1
	ds_load_b32 v8, v1 offset:32852
	s_wait_dscnt 0x0
	v_add_nc_u32_e32 v7, v8, v7
	s_or_b32 exec_lo, exec_lo, s36
	s_and_saveexec_b32 s36, s22
	s_cbranch_execz .LBB38_54
.LBB38_86:                              ;   in Loop: Header=BB38_31 Depth=1
	ds_load_b32 v8, v1 offset:32856
	s_wait_dscnt 0x0
	v_add_nc_u32_e32 v7, v8, v7
	s_or_b32 exec_lo, exec_lo, s36
	s_and_saveexec_b32 s36, s23
	s_cbranch_execz .LBB38_55
.LBB38_87:                              ;   in Loop: Header=BB38_31 Depth=1
	ds_load_b32 v8, v1 offset:32860
	s_wait_dscnt 0x0
	v_add_nc_u32_e32 v7, v8, v7
	s_or_b32 exec_lo, exec_lo, s36
	s_and_saveexec_b32 s36, s24
	s_cbranch_execz .LBB38_56
.LBB38_88:                              ;   in Loop: Header=BB38_31 Depth=1
	ds_load_b32 v8, v1 offset:32864
	s_wait_dscnt 0x0
	v_add_nc_u32_e32 v7, v8, v7
	s_or_b32 exec_lo, exec_lo, s36
	s_and_saveexec_b32 s36, s25
	s_cbranch_execz .LBB38_57
.LBB38_89:                              ;   in Loop: Header=BB38_31 Depth=1
	ds_load_b32 v8, v1 offset:32868
	s_wait_dscnt 0x0
	v_add_nc_u32_e32 v7, v8, v7
	s_or_b32 exec_lo, exec_lo, s36
	s_and_saveexec_b32 s36, s26
	s_cbranch_execz .LBB38_58
.LBB38_90:                              ;   in Loop: Header=BB38_31 Depth=1
	ds_load_b32 v8, v1 offset:32872
	s_wait_dscnt 0x0
	v_add_nc_u32_e32 v7, v8, v7
	s_or_b32 exec_lo, exec_lo, s36
	s_and_saveexec_b32 s36, s27
	s_cbranch_execz .LBB38_59
.LBB38_91:                              ;   in Loop: Header=BB38_31 Depth=1
	ds_load_b32 v8, v1 offset:32876
	s_wait_dscnt 0x0
	v_add_nc_u32_e32 v7, v8, v7
	s_or_b32 exec_lo, exec_lo, s36
	s_and_saveexec_b32 s36, s28
	s_cbranch_execz .LBB38_60
.LBB38_92:                              ;   in Loop: Header=BB38_31 Depth=1
	ds_load_b32 v8, v1 offset:32880
	s_wait_dscnt 0x0
	v_add_nc_u32_e32 v7, v8, v7
	s_or_b32 exec_lo, exec_lo, s36
	s_and_saveexec_b32 s36, s29
	s_cbranch_execz .LBB38_61
.LBB38_93:                              ;   in Loop: Header=BB38_31 Depth=1
	ds_load_b32 v8, v1 offset:32884
	s_wait_dscnt 0x0
	v_add_nc_u32_e32 v7, v8, v7
	s_or_b32 exec_lo, exec_lo, s36
	s_and_saveexec_b32 s36, s30
	s_cbranch_execz .LBB38_62
.LBB38_94:                              ;   in Loop: Header=BB38_31 Depth=1
	ds_load_b32 v8, v1 offset:32888
	s_wait_dscnt 0x0
	v_add_nc_u32_e32 v7, v8, v7
	s_or_b32 exec_lo, exec_lo, s36
	s_and_saveexec_b32 s36, s31
	s_cbranch_execz .LBB38_63
.LBB38_95:                              ;   in Loop: Header=BB38_31 Depth=1
	s_delay_alu instid0(VALU_DEP_1) | instskip(NEXT) | instid1(VALU_DEP_1)
	v_dual_lshlrev_b32 v8, 2, v5 :: v_dual_lshlrev_b32 v9, 2, v7
	v_add_nc_u32_e32 v8, 0, v8
	s_delay_alu instid0(VALU_DEP_1)
	v_add3_u32 v8, v8, v9, -4
	ds_store_b32 v8, v6
	s_or_b32 exec_lo, exec_lo, s36
	s_and_saveexec_b32 s31, vcc_lo
	s_cbranch_execz .LBB38_30
.LBB38_96:                              ;   in Loop: Header=BB38_31 Depth=1
	ds_store_b32 v1, v7 offset:32892
	s_branch .LBB38_30
.LBB38_97:
	s_or_b32 exec_lo, exec_lo, s35
	s_ashr_i32 s35, s34, 31
	s_delay_alu instid0(SALU_CYCLE_1) | instskip(NEXT) | instid1(SALU_CYCLE_1)
	s_lshl_b64 s[0:1], s[34:35], 3
	s_add_nc_u64 s[4:5], s[40:41], s[0:1]
	s_load_b128 s[0:3], s[4:5], 0x0
	s_wait_xcnt 0x0
	s_mov_b32 s4, exec_lo
	s_wait_kmcnt 0x0
	s_sub_co_i32 s3, s2, s0
	s_delay_alu instid0(SALU_CYCLE_1)
	v_cmpx_gt_i32_e64 s3, v0
	s_cbranch_execz .LBB38_107
; %bb.98:
	s_sub_co_i32 s4, s0, s2
	s_and_b32 s2, s3, 7
	s_cmp_lt_u32 s4, -7
	s_mov_b32 s39, 0
	s_cselect_b32 s4, -1, 0
	s_and_b32 s5, s3, -8
	s_cmp_lg_u32 s2, 0
	s_sub_nc_u64 s[0:1], s[0:1], s[38:39]
	s_cselect_b32 s6, -1, 0
	s_mov_b32 s7, 0
	s_branch .LBB38_100
.LBB38_99:                              ;   in Loop: Header=BB38_100 Depth=1
	v_add_nc_u32_e32 v0, 0x400, v0
	s_wait_dscnt 0x0
	v_add_nc_u32_e32 v1, s38, v1
	s_delay_alu instid0(VALU_DEP_3) | instskip(NEXT) | instid1(VALU_DEP_3)
	v_lshl_add_u64 v[2:3], v[2:3], 2, s[42:43]
	v_cmp_le_i32_e32 vcc_lo, s3, v0
	global_store_b32 v[2:3], v1, off
	s_or_b32 s7, vcc_lo, s7
	s_wait_xcnt 0x0
	s_and_not1_b32 exec_lo, exec_lo, s7
	s_cbranch_execz .LBB38_107
.LBB38_100:                             ; =>This Loop Header: Depth=1
                                        ;     Child Loop BB38_102 Depth 2
                                        ;     Child Loop BB38_106 Depth 2
	v_lshl_add_u32 v1, v0, 2, 0
	v_mov_b64_e32 v[2:3], s[0:1]
	s_and_not1_b32 vcc_lo, exec_lo, s4
	s_mov_b32 s8, 0
	ds_load_b32 v1, v1
	s_cbranch_vccnz .LBB38_104
; %bb.101:                              ;   in Loop: Header=BB38_100 Depth=1
	v_mov_b64_e32 v[2:3], s[0:1]
	s_mov_b32 s9, 0
.LBB38_102:                             ;   Parent Loop BB38_100 Depth=1
                                        ; =>  This Inner Loop Header: Depth=2
	s_delay_alu instid0(SALU_CYCLE_1)
	v_dual_mov_b32 v8, s9 :: v_dual_mov_b32 v9, s39
	v_mov_b32_e32 v15, s39
	s_add_co_i32 s8, s8, 8
	s_add_co_i32 s9, s9, 32
	ds_load_2addr_b32 v[4:5], v8 offset1:1
	ds_load_2addr_b32 v[6:7], v8 offset0:2 offset1:3
	ds_load_2addr_b32 v[10:11], v8 offset0:4 offset1:5
	;; [unrolled: 1-line block ×3, first 2 shown]
	s_cmp_eq_u32 s5, s8
	s_wait_dscnt 0x3
	v_cmp_gt_i32_e32 vcc_lo, v1, v4
	v_cndmask_b32_e64 v8, 0, 1, vcc_lo
	v_cmp_gt_i32_e32 vcc_lo, v1, v5
	v_mov_b32_e32 v5, s39
	s_delay_alu instid0(VALU_DEP_3) | instskip(SKIP_4) | instid1(VALU_DEP_3)
	v_add_nc_u64_e32 v[2:3], v[2:3], v[8:9]
	v_cndmask_b32_e64 v14, 0, 1, vcc_lo
	s_wait_dscnt 0x2
	v_cmp_gt_i32_e32 vcc_lo, v1, v6
	v_cndmask_b32_e64 v4, 0, 1, vcc_lo
	v_add_nc_u64_e32 v[2:3], v[2:3], v[14:15]
	v_cmp_gt_i32_e32 vcc_lo, v1, v7
	v_mov_b32_e32 v7, s39
	v_cndmask_b32_e64 v8, 0, 1, vcc_lo
	s_delay_alu instid0(VALU_DEP_4) | instskip(SKIP_3) | instid1(VALU_DEP_3)
	v_add_nc_u64_e32 v[2:3], v[2:3], v[4:5]
	s_wait_dscnt 0x1
	v_cmp_gt_i32_e32 vcc_lo, v1, v10
	v_cndmask_b32_e64 v4, 0, 1, vcc_lo
	v_add_nc_u64_e32 v[2:3], v[2:3], v[8:9]
	v_cmp_gt_i32_e32 vcc_lo, v1, v11
	v_cndmask_b32_e64 v6, 0, 1, vcc_lo
	s_delay_alu instid0(VALU_DEP_3) | instskip(SKIP_3) | instid1(VALU_DEP_3)
	v_add_nc_u64_e32 v[2:3], v[2:3], v[4:5]
	s_wait_dscnt 0x0
	v_cmp_gt_i32_e32 vcc_lo, v1, v12
	v_cndmask_b32_e64 v4, 0, 1, vcc_lo
	v_add_nc_u64_e32 v[2:3], v[2:3], v[6:7]
	v_cmp_gt_i32_e32 vcc_lo, v1, v13
	v_cndmask_b32_e64 v6, 0, 1, vcc_lo
	s_delay_alu instid0(VALU_DEP_3) | instskip(NEXT) | instid1(VALU_DEP_1)
	v_add_nc_u64_e32 v[2:3], v[2:3], v[4:5]
	v_add_nc_u64_e32 v[2:3], v[2:3], v[6:7]
	s_cbranch_scc0 .LBB38_102
; %bb.103:                              ;   in Loop: Header=BB38_100 Depth=1
	s_mov_b32 s8, s5
.LBB38_104:                             ;   in Loop: Header=BB38_100 Depth=1
	s_and_not1_b32 vcc_lo, exec_lo, s6
	s_cbranch_vccnz .LBB38_99
; %bb.105:                              ;   in Loop: Header=BB38_100 Depth=1
	s_lshl_b32 s8, s8, 2
	s_mov_b32 s9, s2
	s_add_co_i32 s8, s8, 0
.LBB38_106:                             ;   Parent Loop BB38_100 Depth=1
                                        ; =>  This Inner Loop Header: Depth=2
	s_delay_alu instid0(SALU_CYCLE_1)
	v_dual_mov_b32 v4, s8 :: v_dual_mov_b32 v5, s39
	s_add_co_i32 s9, s9, -1
	s_add_co_i32 s8, s8, 4
	s_cmp_lg_u32 s9, 0
	ds_load_b32 v4, v4
	s_wait_dscnt 0x0
	v_cmp_gt_i32_e32 vcc_lo, v1, v4
	v_cndmask_b32_e64 v4, 0, 1, vcc_lo
	s_delay_alu instid0(VALU_DEP_1)
	v_add_nc_u64_e32 v[2:3], v[2:3], v[4:5]
	s_cbranch_scc1 .LBB38_106
	s_branch .LBB38_99
.LBB38_107:
	s_endpgm
	.section	.rodata,"a",@progbits
	.p2align	6, 0x0
	.amdhsa_kernel _ZN9rocsparseL35csrgemm_symbolic_fill_block_per_rowILj1024ELj64ELj8192ELj137ELj32EliEEvT5_PKS1_S3_PKT4_S3_S6_S3_S6_S3_S6_PS1_21rocsparse_index_base_S8_S8_S8_bb
		.amdhsa_group_segment_fixed_size 0
		.amdhsa_private_segment_fixed_size 0
		.amdhsa_kernarg_size 108
		.amdhsa_user_sgpr_count 2
		.amdhsa_user_sgpr_dispatch_ptr 0
		.amdhsa_user_sgpr_queue_ptr 0
		.amdhsa_user_sgpr_kernarg_segment_ptr 1
		.amdhsa_user_sgpr_dispatch_id 0
		.amdhsa_user_sgpr_kernarg_preload_length 0
		.amdhsa_user_sgpr_kernarg_preload_offset 0
		.amdhsa_user_sgpr_private_segment_size 0
		.amdhsa_wavefront_size32 1
		.amdhsa_uses_dynamic_stack 0
		.amdhsa_enable_private_segment 0
		.amdhsa_system_sgpr_workgroup_id_x 1
		.amdhsa_system_sgpr_workgroup_id_y 0
		.amdhsa_system_sgpr_workgroup_id_z 0
		.amdhsa_system_sgpr_workgroup_info 0
		.amdhsa_system_vgpr_workitem_id 0
		.amdhsa_next_free_vgpr 16
		.amdhsa_next_free_sgpr 44
		.amdhsa_named_barrier_count 0
		.amdhsa_reserve_vcc 1
		.amdhsa_float_round_mode_32 0
		.amdhsa_float_round_mode_16_64 0
		.amdhsa_float_denorm_mode_32 3
		.amdhsa_float_denorm_mode_16_64 3
		.amdhsa_fp16_overflow 0
		.amdhsa_memory_ordered 1
		.amdhsa_forward_progress 1
		.amdhsa_inst_pref_size 29
		.amdhsa_round_robin_scheduling 0
		.amdhsa_exception_fp_ieee_invalid_op 0
		.amdhsa_exception_fp_denorm_src 0
		.amdhsa_exception_fp_ieee_div_zero 0
		.amdhsa_exception_fp_ieee_overflow 0
		.amdhsa_exception_fp_ieee_underflow 0
		.amdhsa_exception_fp_ieee_inexact 0
		.amdhsa_exception_int_div_zero 0
	.end_amdhsa_kernel
	.section	.text._ZN9rocsparseL35csrgemm_symbolic_fill_block_per_rowILj1024ELj64ELj8192ELj137ELj32EliEEvT5_PKS1_S3_PKT4_S3_S6_S3_S6_S3_S6_PS1_21rocsparse_index_base_S8_S8_S8_bb,"axG",@progbits,_ZN9rocsparseL35csrgemm_symbolic_fill_block_per_rowILj1024ELj64ELj8192ELj137ELj32EliEEvT5_PKS1_S3_PKT4_S3_S6_S3_S6_S3_S6_PS1_21rocsparse_index_base_S8_S8_S8_bb,comdat
.Lfunc_end38:
	.size	_ZN9rocsparseL35csrgemm_symbolic_fill_block_per_rowILj1024ELj64ELj8192ELj137ELj32EliEEvT5_PKS1_S3_PKT4_S3_S6_S3_S6_S3_S6_PS1_21rocsparse_index_base_S8_S8_S8_bb, .Lfunc_end38-_ZN9rocsparseL35csrgemm_symbolic_fill_block_per_rowILj1024ELj64ELj8192ELj137ELj32EliEEvT5_PKS1_S3_PKT4_S3_S6_S3_S6_S3_S6_PS1_21rocsparse_index_base_S8_S8_S8_bb
                                        ; -- End function
	.set _ZN9rocsparseL35csrgemm_symbolic_fill_block_per_rowILj1024ELj64ELj8192ELj137ELj32EliEEvT5_PKS1_S3_PKT4_S3_S6_S3_S6_S3_S6_PS1_21rocsparse_index_base_S8_S8_S8_bb.num_vgpr, 16
	.set _ZN9rocsparseL35csrgemm_symbolic_fill_block_per_rowILj1024ELj64ELj8192ELj137ELj32EliEEvT5_PKS1_S3_PKT4_S3_S6_S3_S6_S3_S6_PS1_21rocsparse_index_base_S8_S8_S8_bb.num_agpr, 0
	.set _ZN9rocsparseL35csrgemm_symbolic_fill_block_per_rowILj1024ELj64ELj8192ELj137ELj32EliEEvT5_PKS1_S3_PKT4_S3_S6_S3_S6_S3_S6_PS1_21rocsparse_index_base_S8_S8_S8_bb.numbered_sgpr, 44
	.set _ZN9rocsparseL35csrgemm_symbolic_fill_block_per_rowILj1024ELj64ELj8192ELj137ELj32EliEEvT5_PKS1_S3_PKT4_S3_S6_S3_S6_S3_S6_PS1_21rocsparse_index_base_S8_S8_S8_bb.num_named_barrier, 0
	.set _ZN9rocsparseL35csrgemm_symbolic_fill_block_per_rowILj1024ELj64ELj8192ELj137ELj32EliEEvT5_PKS1_S3_PKT4_S3_S6_S3_S6_S3_S6_PS1_21rocsparse_index_base_S8_S8_S8_bb.private_seg_size, 0
	.set _ZN9rocsparseL35csrgemm_symbolic_fill_block_per_rowILj1024ELj64ELj8192ELj137ELj32EliEEvT5_PKS1_S3_PKT4_S3_S6_S3_S6_S3_S6_PS1_21rocsparse_index_base_S8_S8_S8_bb.uses_vcc, 1
	.set _ZN9rocsparseL35csrgemm_symbolic_fill_block_per_rowILj1024ELj64ELj8192ELj137ELj32EliEEvT5_PKS1_S3_PKT4_S3_S6_S3_S6_S3_S6_PS1_21rocsparse_index_base_S8_S8_S8_bb.uses_flat_scratch, 0
	.set _ZN9rocsparseL35csrgemm_symbolic_fill_block_per_rowILj1024ELj64ELj8192ELj137ELj32EliEEvT5_PKS1_S3_PKT4_S3_S6_S3_S6_S3_S6_PS1_21rocsparse_index_base_S8_S8_S8_bb.has_dyn_sized_stack, 0
	.set _ZN9rocsparseL35csrgemm_symbolic_fill_block_per_rowILj1024ELj64ELj8192ELj137ELj32EliEEvT5_PKS1_S3_PKT4_S3_S6_S3_S6_S3_S6_PS1_21rocsparse_index_base_S8_S8_S8_bb.has_recursion, 0
	.set _ZN9rocsparseL35csrgemm_symbolic_fill_block_per_rowILj1024ELj64ELj8192ELj137ELj32EliEEvT5_PKS1_S3_PKT4_S3_S6_S3_S6_S3_S6_PS1_21rocsparse_index_base_S8_S8_S8_bb.has_indirect_call, 0
	.section	.AMDGPU.csdata,"",@progbits
; Kernel info:
; codeLenInByte = 3604
; TotalNumSgprs: 46
; NumVgprs: 16
; ScratchSize: 0
; MemoryBound: 0
; FloatMode: 240
; IeeeMode: 1
; LDSByteSize: 0 bytes/workgroup (compile time only)
; SGPRBlocks: 0
; VGPRBlocks: 0
; NumSGPRsForWavesPerEU: 46
; NumVGPRsForWavesPerEU: 16
; NamedBarCnt: 0
; Occupancy: 16
; WaveLimiterHint : 1
; COMPUTE_PGM_RSRC2:SCRATCH_EN: 0
; COMPUTE_PGM_RSRC2:USER_SGPR: 2
; COMPUTE_PGM_RSRC2:TRAP_HANDLER: 0
; COMPUTE_PGM_RSRC2:TGID_X_EN: 1
; COMPUTE_PGM_RSRC2:TGID_Y_EN: 0
; COMPUTE_PGM_RSRC2:TGID_Z_EN: 0
; COMPUTE_PGM_RSRC2:TIDIG_COMP_CNT: 0
	.section	.text._ZN9rocsparseL35csrgemm_symbolic_fill_block_per_rowILj1024ELj64ELj8192ELj137ELj64EliEEvT5_PKS1_S3_PKT4_S3_S6_S3_S6_S3_S6_PS1_21rocsparse_index_base_S8_S8_S8_bb,"axG",@progbits,_ZN9rocsparseL35csrgemm_symbolic_fill_block_per_rowILj1024ELj64ELj8192ELj137ELj64EliEEvT5_PKS1_S3_PKT4_S3_S6_S3_S6_S3_S6_PS1_21rocsparse_index_base_S8_S8_S8_bb,comdat
	.globl	_ZN9rocsparseL35csrgemm_symbolic_fill_block_per_rowILj1024ELj64ELj8192ELj137ELj64EliEEvT5_PKS1_S3_PKT4_S3_S6_S3_S6_S3_S6_PS1_21rocsparse_index_base_S8_S8_S8_bb ; -- Begin function _ZN9rocsparseL35csrgemm_symbolic_fill_block_per_rowILj1024ELj64ELj8192ELj137ELj64EliEEvT5_PKS1_S3_PKT4_S3_S6_S3_S6_S3_S6_PS1_21rocsparse_index_base_S8_S8_S8_bb
	.p2align	8
	.type	_ZN9rocsparseL35csrgemm_symbolic_fill_block_per_rowILj1024ELj64ELj8192ELj137ELj64EliEEvT5_PKS1_S3_PKT4_S3_S6_S3_S6_S3_S6_PS1_21rocsparse_index_base_S8_S8_S8_bb,@function
_ZN9rocsparseL35csrgemm_symbolic_fill_block_per_rowILj1024ELj64ELj8192ELj137ELj64EliEEvT5_PKS1_S3_PKT4_S3_S6_S3_S6_S3_S6_PS1_21rocsparse_index_base_S8_S8_S8_bb: ; @_ZN9rocsparseL35csrgemm_symbolic_fill_block_per_rowILj1024ELj64ELj8192ELj137ELj64EliEEvT5_PKS1_S3_PKT4_S3_S6_S3_S6_S3_S6_PS1_21rocsparse_index_base_S8_S8_S8_bb
; %bb.0:
	s_clause 0x1
	s_load_b32 s26, s[0:1], 0x0
	s_load_b128 s[4:7], s[0:1], 0x8
	v_lshl_add_u32 v12, v0, 2, 0
	s_bfe_u32 s3, ttmp6, 0x4000c
	s_load_b32 s12, s[0:1], 0x68
	s_add_co_i32 s3, s3, 1
	s_delay_alu instid0(SALU_CYCLE_1)
	s_mul_i32 s3, ttmp9, s3
	s_wait_kmcnt 0x0
	v_dual_mov_b32 v1, s26 :: v_dual_mov_b32 v2, s26
	v_dual_mov_b32 v3, s26 :: v_dual_mov_b32 v4, s26
	;; [unrolled: 1-line block ×4, first 2 shown]
	ds_store_2addr_stride64_b32 v12, v1, v2 offset1:16
	ds_store_2addr_stride64_b32 v12, v3, v4 offset0:32 offset1:48
	ds_store_2addr_stride64_b32 v12, v5, v6 offset0:64 offset1:80
	;; [unrolled: 1-line block ×3, first 2 shown]
	s_wait_dscnt 0x0
	s_barrier_signal -1
	s_barrier_wait -1
	s_load_b32 s2, s[4:5], 0x0
	s_wait_xcnt 0x0
	s_and_b32 s4, ttmp6, 15
	s_getreg_b32 s5, hwreg(HW_REG_IB_STS2, 6, 4)
	s_add_co_i32 s4, s4, s3
	s_cmp_eq_u32 s5, 0
	v_lshrrev_b32_e32 v2, 6, v0
	s_cselect_b32 s3, ttmp9, s4
	s_wait_kmcnt 0x0
	s_add_co_i32 s2, s2, s3
	s_load_b128 s[16:19], s[0:1], 0x58
	s_load_b32 s24, s[6:7], s2 offset:0x0 scale_offset
	s_bitcmp0_b32 s12, 0
	s_mov_b32 s3, 0
	s_cbranch_scc1 .LBB39_16
; %bb.1:
	s_load_b64 s[4:5], s[0:1], 0x18
	s_wait_kmcnt 0x0
	s_ashr_i32 s25, s24, 31
	v_mov_b32_e32 v3, 0
	s_lshl_b64 s[6:7], s[24:25], 3
	s_mov_b32 s2, s16
	s_mov_b32 s13, exec_lo
	s_delay_alu instid0(VALU_DEP_1) | instskip(SKIP_3) | instid1(VALU_DEP_1)
	v_sub_nc_u64_e64 v[4:5], v[2:3], s[2:3]
	s_add_nc_u64 s[8:9], s[4:5], s[6:7]
	s_load_b128 s[4:7], s[8:9], 0x0
	s_wait_kmcnt 0x0
	v_add_nc_u64_e32 v[4:5], s[4:5], v[4:5]
	s_sub_nc_u64 s[2:3], s[6:7], s[2:3]
	s_delay_alu instid0(VALU_DEP_1) | instid1(SALU_CYCLE_1)
	v_cmpx_gt_i64_e64 s[2:3], v[4:5]
	s_cbranch_execz .LBB39_15
; %bb.2:
	s_clause 0x1
	s_load_b128 s[4:7], s[0:1], 0x20
	s_load_b64 s[8:9], s[0:1], 0x30
	v_dual_mov_b32 v7, v3 :: v_dual_bitop2_b32 v6, 63, v0 bitop3:0x40
	s_mov_b32 s11, 0
	s_mov_b32 s10, s17
	;; [unrolled: 1-line block ×3, first 2 shown]
	s_delay_alu instid0(VALU_DEP_1)
	v_sub_nc_u64_e64 v[6:7], v[6:7], s[10:11]
	s_branch .LBB39_4
.LBB39_3:                               ;   in Loop: Header=BB39_4 Depth=1
	s_or_b32 exec_lo, exec_lo, s15
	v_add_nc_u64_e32 v[4:5], 16, v[4:5]
	s_delay_alu instid0(VALU_DEP_1) | instskip(SKIP_1) | instid1(SALU_CYCLE_1)
	v_cmp_le_i64_e32 vcc_lo, s[2:3], v[4:5]
	s_or_b32 s14, vcc_lo, s14
	s_and_not1_b32 exec_lo, exec_lo, s14
	s_cbranch_execz .LBB39_15
.LBB39_4:                               ; =>This Loop Header: Depth=1
                                        ;     Child Loop BB39_7 Depth 2
                                        ;       Child Loop BB39_10 Depth 3
	s_wait_kmcnt 0x0
	v_lshl_add_u64 v[8:9], v[4:5], 2, s[4:5]
	s_mov_b32 s15, exec_lo
	global_load_b32 v1, v[8:9], off
	s_wait_loadcnt 0x0
	v_subrev_nc_u32_e32 v8, s16, v1
	s_delay_alu instid0(VALU_DEP_1) | instskip(NEXT) | instid1(VALU_DEP_1)
	v_ashrrev_i32_e32 v9, 31, v8
	v_lshl_add_u64 v[8:9], v[8:9], 3, s[6:7]
	global_load_b128 v[14:17], v[8:9], off
	s_wait_loadcnt 0x0
	v_sub_nc_u64_e64 v[8:9], v[16:17], s[10:11]
	v_add_nc_u64_e32 v[10:11], v[14:15], v[6:7]
	s_delay_alu instid0(VALU_DEP_1)
	v_cmpx_lt_i64_e64 v[10:11], v[8:9]
	s_cbranch_execz .LBB39_3
; %bb.5:                                ;   in Loop: Header=BB39_4 Depth=1
	s_mov_b32 s20, 0
	s_branch .LBB39_7
.LBB39_6:                               ;   in Loop: Header=BB39_7 Depth=2
	s_or_b32 exec_lo, exec_lo, s21
	v_add_nc_u64_e32 v[10:11], 64, v[10:11]
	s_delay_alu instid0(VALU_DEP_1) | instskip(SKIP_1) | instid1(SALU_CYCLE_1)
	v_cmp_ge_i64_e32 vcc_lo, v[10:11], v[8:9]
	s_or_b32 s20, vcc_lo, s20
	s_and_not1_b32 exec_lo, exec_lo, s20
	s_cbranch_execz .LBB39_3
.LBB39_7:                               ;   Parent Loop BB39_4 Depth=1
                                        ; =>  This Loop Header: Depth=2
                                        ;       Child Loop BB39_10 Depth 3
	v_lshl_add_u64 v[14:15], v[10:11], 2, s[8:9]
	s_mov_b32 s21, 0
                                        ; implicit-def: $sgpr22
	global_load_b32 v1, v[14:15], off
	s_wait_loadcnt 0x0
	v_subrev_nc_u32_e32 v1, s17, v1
	s_delay_alu instid0(VALU_DEP_1) | instskip(NEXT) | instid1(VALU_DEP_1)
	v_mul_lo_u32 v3, 0x89, v1
	v_and_b32_e32 v3, 0x1fff, v3
	s_branch .LBB39_10
.LBB39_8:                               ;   in Loop: Header=BB39_10 Depth=3
	s_or_b32 exec_lo, exec_lo, s25
	s_delay_alu instid0(SALU_CYCLE_1) | instskip(SKIP_1) | instid1(SALU_CYCLE_1)
	s_and_not1_b32 s22, s22, exec_lo
	s_and_b32 s25, s27, exec_lo
	s_or_b32 s22, s22, s25
.LBB39_9:                               ;   in Loop: Header=BB39_10 Depth=3
	s_or_b32 exec_lo, exec_lo, s23
	s_xor_b32 s23, s22, -1
	s_delay_alu instid0(SALU_CYCLE_1) | instskip(NEXT) | instid1(SALU_CYCLE_1)
	s_and_b32 s23, exec_lo, s23
	s_or_b32 s21, s23, s21
	s_delay_alu instid0(SALU_CYCLE_1)
	s_and_not1_b32 exec_lo, exec_lo, s21
	s_cbranch_execz .LBB39_6
.LBB39_10:                              ;   Parent Loop BB39_4 Depth=1
                                        ;     Parent Loop BB39_7 Depth=2
                                        ; =>    This Inner Loop Header: Depth=3
	s_delay_alu instid0(VALU_DEP_1)
	v_lshl_add_u32 v13, v3, 2, 0
	s_and_not1_b32 s22, s22, exec_lo
	s_mov_b32 s23, exec_lo
	ds_load_b32 v14, v13
	s_wait_dscnt 0x0
	v_cmpx_ne_u32_e64 v14, v1
	s_cbranch_execz .LBB39_9
; %bb.11:                               ;   in Loop: Header=BB39_10 Depth=3
	s_mov_b32 s25, exec_lo
	v_cmpx_ne_u32_e64 s26, v14
	s_xor_b32 s25, exec_lo, s25
; %bb.12:                               ;   in Loop: Header=BB39_10 Depth=3
	v_add_nc_u32_e32 v3, 1, v3
                                        ; implicit-def: $vgpr13
	s_delay_alu instid0(VALU_DEP_1)
	v_and_b32_e32 v3, 0x1fff, v3
; %bb.13:                               ;   in Loop: Header=BB39_10 Depth=3
	s_or_saveexec_b32 s25, s25
	s_mov_b32 s27, -1
	s_xor_b32 exec_lo, exec_lo, s25
	s_cbranch_execz .LBB39_8
; %bb.14:                               ;   in Loop: Header=BB39_10 Depth=3
	v_mov_b32_e32 v14, s26
	ds_cmpstore_rtn_b32 v13, v13, v1, v14
	s_wait_dscnt 0x0
	v_cmp_ne_u32_e32 vcc_lo, s26, v13
	s_or_not1_b32 s27, vcc_lo, exec_lo
	s_branch .LBB39_8
.LBB39_15:
	s_or_b32 exec_lo, exec_lo, s13
.LBB39_16:
	s_wait_xcnt 0x0
	s_bfe_u32 s2, s12, 0x10008
	s_delay_alu instid0(SALU_CYCLE_1)
	s_cmp_eq_u32 s2, 0
	s_cbranch_scc1 .LBB39_29
; %bb.17:
	s_load_b64 s[2:3], s[0:1], 0x38
	s_wait_kmcnt 0x0
	s_ashr_i32 s25, s24, 31
	v_mov_b32_e32 v1, 0
	s_lshl_b64 s[4:5], s[24:25], 3
	s_delay_alu instid0(SALU_CYCLE_1) | instskip(SKIP_4) | instid1(SALU_CYCLE_1)
	s_add_nc_u64 s[2:3], s[2:3], s[4:5]
	s_load_b128 s[4:7], s[2:3], 0x0
	s_wait_xcnt 0x0
	s_mov_b32 s3, 0
	s_mov_b32 s2, s19
	v_sub_nc_u64_e64 v[4:5], v[0:1], s[2:3]
	s_wait_kmcnt 0x0
	s_delay_alu instid0(VALU_DEP_1) | instskip(SKIP_2) | instid1(VALU_DEP_1)
	v_add_nc_u64_e32 v[4:5], s[4:5], v[4:5]
	s_sub_nc_u64 s[4:5], s[6:7], s[2:3]
	s_mov_b32 s2, exec_lo
	v_cmpx_gt_i64_e64 s[4:5], v[4:5]
	s_cbranch_execz .LBB39_28
; %bb.18:
	s_load_b64 s[6:7], s[0:1], 0x40
	s_branch .LBB39_20
.LBB39_19:                              ;   in Loop: Header=BB39_20 Depth=1
	s_or_b32 exec_lo, exec_lo, s8
	v_add_nc_u64_e32 v[4:5], 0x400, v[4:5]
	s_delay_alu instid0(VALU_DEP_1) | instskip(SKIP_1) | instid1(SALU_CYCLE_1)
	v_cmp_le_i64_e32 vcc_lo, s[4:5], v[4:5]
	s_or_b32 s3, vcc_lo, s3
	s_and_not1_b32 exec_lo, exec_lo, s3
	s_cbranch_execz .LBB39_28
.LBB39_20:                              ; =>This Loop Header: Depth=1
                                        ;     Child Loop BB39_23 Depth 2
	s_wait_kmcnt 0x0
	v_lshl_add_u64 v[6:7], v[4:5], 2, s[6:7]
	s_mov_b32 s8, 0
                                        ; implicit-def: $sgpr9
	global_load_b32 v1, v[6:7], off
	s_wait_loadcnt 0x0
	v_subrev_nc_u32_e32 v1, s19, v1
	s_delay_alu instid0(VALU_DEP_1) | instskip(NEXT) | instid1(VALU_DEP_1)
	v_mul_lo_u32 v3, 0x89, v1
	v_and_b32_e32 v3, 0x1fff, v3
	s_branch .LBB39_23
.LBB39_21:                              ;   in Loop: Header=BB39_23 Depth=2
	s_or_b32 exec_lo, exec_lo, s11
	s_delay_alu instid0(SALU_CYCLE_1) | instskip(SKIP_1) | instid1(SALU_CYCLE_1)
	s_and_not1_b32 s9, s9, exec_lo
	s_and_b32 s11, s12, exec_lo
	s_or_b32 s9, s9, s11
.LBB39_22:                              ;   in Loop: Header=BB39_23 Depth=2
	s_or_b32 exec_lo, exec_lo, s10
	s_xor_b32 s10, s9, -1
	s_delay_alu instid0(SALU_CYCLE_1) | instskip(NEXT) | instid1(SALU_CYCLE_1)
	s_and_b32 s10, exec_lo, s10
	s_or_b32 s8, s10, s8
	s_delay_alu instid0(SALU_CYCLE_1)
	s_and_not1_b32 exec_lo, exec_lo, s8
	s_cbranch_execz .LBB39_19
.LBB39_23:                              ;   Parent Loop BB39_20 Depth=1
                                        ; =>  This Inner Loop Header: Depth=2
	s_delay_alu instid0(VALU_DEP_1)
	v_lshl_add_u32 v6, v3, 2, 0
	s_and_not1_b32 s9, s9, exec_lo
	s_mov_b32 s10, exec_lo
	ds_load_b32 v7, v6
	s_wait_dscnt 0x0
	v_cmpx_ne_u32_e64 v7, v1
	s_cbranch_execz .LBB39_22
; %bb.24:                               ;   in Loop: Header=BB39_23 Depth=2
	s_mov_b32 s11, exec_lo
	v_cmpx_ne_u32_e64 s26, v7
	s_xor_b32 s11, exec_lo, s11
; %bb.25:                               ;   in Loop: Header=BB39_23 Depth=2
	v_add_nc_u32_e32 v3, 1, v3
                                        ; implicit-def: $vgpr6
	s_delay_alu instid0(VALU_DEP_1)
	v_and_b32_e32 v3, 0x1fff, v3
; %bb.26:                               ;   in Loop: Header=BB39_23 Depth=2
	s_or_saveexec_b32 s11, s11
	s_mov_b32 s12, -1
	s_xor_b32 exec_lo, exec_lo, s11
	s_cbranch_execz .LBB39_21
; %bb.27:                               ;   in Loop: Header=BB39_23 Depth=2
	v_mov_b32_e32 v7, s26
	ds_cmpstore_rtn_b32 v6, v6, v1, v7
	s_wait_dscnt 0x0
	v_cmp_ne_u32_e32 vcc_lo, s26, v6
	s_or_not1_b32 s12, vcc_lo, exec_lo
	s_branch .LBB39_21
.LBB39_28:
	s_or_b32 exec_lo, exec_lo, s2
.LBB39_29:
	s_load_b128 s[20:23], s[0:1], 0x48
	v_mbcnt_lo_u32_b32 v4, -1, 0
	v_mov_b32_e32 v1, 0
	v_lshl_add_u32 v3, v2, 2, 0
	s_wait_xcnt 0x0
	v_cmp_lt_u32_e64 s0, 63, v0
	v_cmp_lt_u32_e64 s1, 0x7f, v0
	v_xor_b32_e32 v2, 31, v4
	v_cmp_lt_u32_e64 s2, 0xbf, v0
	v_cmp_lt_u32_e64 s3, 0xff, v0
	;; [unrolled: 1-line block ×4, first 2 shown]
	v_lshrrev_b32_e64 v2, v2, -1
	v_cmp_lt_u32_e64 s6, 0x1bf, v0
	v_cmp_lt_u32_e64 s7, 0x1ff, v0
	v_cmp_lt_u32_e64 s8, 0x23f, v0
	v_cmp_lt_u32_e64 s9, 0x27f, v0
	v_cmp_lt_u32_e64 s10, 0x2bf, v0
	v_cmp_lt_u32_e64 s11, 0x2ff, v0
	v_cmp_lt_u32_e64 s12, 0x33f, v0
	v_cmp_lt_u32_e64 s13, 0x37f, v0
	v_cmp_lt_u32_e64 s14, 0x3bf, v0
	v_or_b32_e32 v4, 0xfffffc00, v0
	v_mov_b32_e32 v5, 0
	s_wait_kmcnt 0x0
	s_mov_b32 s16, 0
	v_cmp_eq_u32_e32 vcc_lo, 0x3ff, v0
	s_barrier_signal -1
	s_barrier_wait -1
	s_branch .LBB39_31
.LBB39_30:                              ;   in Loop: Header=BB39_31 Depth=1
	s_or_b32 exec_lo, exec_lo, s15
	s_wait_dscnt 0x0
	s_barrier_signal -1
	s_barrier_wait -1
	ds_load_b32 v6, v1 offset:32828
	v_add_nc_u32_e32 v4, 0x400, v4
	v_add_nc_u32_e32 v12, 0x1000, v12
	s_delay_alu instid0(VALU_DEP_2)
	v_cmp_lt_u32_e64 s15, 0x1bff, v4
	s_or_b32 s16, s15, s16
	s_wait_dscnt 0x0
	v_add_nc_u32_e32 v5, v6, v5
	s_and_not1_b32 exec_lo, exec_lo, s16
	s_cbranch_execz .LBB39_65
.LBB39_31:                              ; =>This Inner Loop Header: Depth=1
	ds_load_b32 v6, v12
	s_wait_dscnt 0x0
	s_barrier_signal -1
	s_barrier_wait -1
	v_cmp_gt_i32_e64 s15, s26, v6
	s_bcnt1_i32_b32 s17, s15
	s_delay_alu instid0(SALU_CYCLE_1) | instskip(NEXT) | instid1(VALU_DEP_1)
	v_dual_mov_b32 v8, s17 :: v_dual_bitop2_b32 v7, s15, v2 bitop3:0x40
	v_bcnt_u32_b32 v7, v7, 0
	ds_store_b32 v3, v8 offset:32768
	s_wait_dscnt 0x0
	s_barrier_signal -1
	s_barrier_wait -1
	s_and_saveexec_b32 s17, s0
	s_cbranch_execnz .LBB39_48
; %bb.32:                               ;   in Loop: Header=BB39_31 Depth=1
	s_or_b32 exec_lo, exec_lo, s17
	s_and_saveexec_b32 s17, s1
	s_cbranch_execnz .LBB39_49
.LBB39_33:                              ;   in Loop: Header=BB39_31 Depth=1
	s_or_b32 exec_lo, exec_lo, s17
	s_and_saveexec_b32 s17, s2
	s_cbranch_execnz .LBB39_50
.LBB39_34:                              ;   in Loop: Header=BB39_31 Depth=1
	s_or_b32 exec_lo, exec_lo, s17
	s_and_saveexec_b32 s17, s3
	s_cbranch_execnz .LBB39_51
.LBB39_35:                              ;   in Loop: Header=BB39_31 Depth=1
	s_or_b32 exec_lo, exec_lo, s17
	s_and_saveexec_b32 s17, s4
	s_cbranch_execnz .LBB39_52
.LBB39_36:                              ;   in Loop: Header=BB39_31 Depth=1
	s_or_b32 exec_lo, exec_lo, s17
	s_and_saveexec_b32 s17, s5
	s_cbranch_execnz .LBB39_53
.LBB39_37:                              ;   in Loop: Header=BB39_31 Depth=1
	s_or_b32 exec_lo, exec_lo, s17
	s_and_saveexec_b32 s17, s6
	s_cbranch_execnz .LBB39_54
.LBB39_38:                              ;   in Loop: Header=BB39_31 Depth=1
	s_or_b32 exec_lo, exec_lo, s17
	s_and_saveexec_b32 s17, s7
	s_cbranch_execnz .LBB39_55
.LBB39_39:                              ;   in Loop: Header=BB39_31 Depth=1
	s_or_b32 exec_lo, exec_lo, s17
	s_and_saveexec_b32 s17, s8
	s_cbranch_execnz .LBB39_56
.LBB39_40:                              ;   in Loop: Header=BB39_31 Depth=1
	s_or_b32 exec_lo, exec_lo, s17
	s_and_saveexec_b32 s17, s9
	s_cbranch_execnz .LBB39_57
.LBB39_41:                              ;   in Loop: Header=BB39_31 Depth=1
	s_or_b32 exec_lo, exec_lo, s17
	s_and_saveexec_b32 s17, s10
	s_cbranch_execnz .LBB39_58
.LBB39_42:                              ;   in Loop: Header=BB39_31 Depth=1
	s_or_b32 exec_lo, exec_lo, s17
	s_and_saveexec_b32 s17, s11
	s_cbranch_execnz .LBB39_59
.LBB39_43:                              ;   in Loop: Header=BB39_31 Depth=1
	s_or_b32 exec_lo, exec_lo, s17
	s_and_saveexec_b32 s17, s12
	s_cbranch_execnz .LBB39_60
.LBB39_44:                              ;   in Loop: Header=BB39_31 Depth=1
	s_or_b32 exec_lo, exec_lo, s17
	s_and_saveexec_b32 s17, s13
	s_cbranch_execnz .LBB39_61
.LBB39_45:                              ;   in Loop: Header=BB39_31 Depth=1
	s_or_b32 exec_lo, exec_lo, s17
	s_and_saveexec_b32 s17, s14
	s_cbranch_execnz .LBB39_62
.LBB39_46:                              ;   in Loop: Header=BB39_31 Depth=1
	s_or_b32 exec_lo, exec_lo, s17
	s_and_saveexec_b32 s17, s15
	s_cbranch_execnz .LBB39_63
.LBB39_47:                              ;   in Loop: Header=BB39_31 Depth=1
	s_or_b32 exec_lo, exec_lo, s17
	s_and_saveexec_b32 s15, vcc_lo
	s_cbranch_execz .LBB39_30
	s_branch .LBB39_64
.LBB39_48:                              ;   in Loop: Header=BB39_31 Depth=1
	ds_load_b32 v8, v1 offset:32768
	s_wait_dscnt 0x0
	v_add_nc_u32_e32 v7, v8, v7
	s_or_b32 exec_lo, exec_lo, s17
	s_and_saveexec_b32 s17, s1
	s_cbranch_execz .LBB39_33
.LBB39_49:                              ;   in Loop: Header=BB39_31 Depth=1
	ds_load_b32 v8, v1 offset:32772
	s_wait_dscnt 0x0
	v_add_nc_u32_e32 v7, v8, v7
	s_or_b32 exec_lo, exec_lo, s17
	s_and_saveexec_b32 s17, s2
	s_cbranch_execz .LBB39_34
.LBB39_50:                              ;   in Loop: Header=BB39_31 Depth=1
	ds_load_b32 v8, v1 offset:32776
	s_wait_dscnt 0x0
	v_add_nc_u32_e32 v7, v8, v7
	s_or_b32 exec_lo, exec_lo, s17
	s_and_saveexec_b32 s17, s3
	s_cbranch_execz .LBB39_35
.LBB39_51:                              ;   in Loop: Header=BB39_31 Depth=1
	ds_load_b32 v8, v1 offset:32780
	s_wait_dscnt 0x0
	v_add_nc_u32_e32 v7, v8, v7
	s_or_b32 exec_lo, exec_lo, s17
	s_and_saveexec_b32 s17, s4
	s_cbranch_execz .LBB39_36
.LBB39_52:                              ;   in Loop: Header=BB39_31 Depth=1
	ds_load_b32 v8, v1 offset:32784
	s_wait_dscnt 0x0
	v_add_nc_u32_e32 v7, v8, v7
	s_or_b32 exec_lo, exec_lo, s17
	s_and_saveexec_b32 s17, s5
	s_cbranch_execz .LBB39_37
.LBB39_53:                              ;   in Loop: Header=BB39_31 Depth=1
	ds_load_b32 v8, v1 offset:32788
	s_wait_dscnt 0x0
	v_add_nc_u32_e32 v7, v8, v7
	s_or_b32 exec_lo, exec_lo, s17
	s_and_saveexec_b32 s17, s6
	s_cbranch_execz .LBB39_38
.LBB39_54:                              ;   in Loop: Header=BB39_31 Depth=1
	ds_load_b32 v8, v1 offset:32792
	s_wait_dscnt 0x0
	v_add_nc_u32_e32 v7, v8, v7
	s_or_b32 exec_lo, exec_lo, s17
	s_and_saveexec_b32 s17, s7
	s_cbranch_execz .LBB39_39
.LBB39_55:                              ;   in Loop: Header=BB39_31 Depth=1
	ds_load_b32 v8, v1 offset:32796
	s_wait_dscnt 0x0
	v_add_nc_u32_e32 v7, v8, v7
	s_or_b32 exec_lo, exec_lo, s17
	s_and_saveexec_b32 s17, s8
	s_cbranch_execz .LBB39_40
.LBB39_56:                              ;   in Loop: Header=BB39_31 Depth=1
	ds_load_b32 v8, v1 offset:32800
	s_wait_dscnt 0x0
	v_add_nc_u32_e32 v7, v8, v7
	s_or_b32 exec_lo, exec_lo, s17
	s_and_saveexec_b32 s17, s9
	s_cbranch_execz .LBB39_41
.LBB39_57:                              ;   in Loop: Header=BB39_31 Depth=1
	ds_load_b32 v8, v1 offset:32804
	s_wait_dscnt 0x0
	v_add_nc_u32_e32 v7, v8, v7
	s_or_b32 exec_lo, exec_lo, s17
	s_and_saveexec_b32 s17, s10
	s_cbranch_execz .LBB39_42
.LBB39_58:                              ;   in Loop: Header=BB39_31 Depth=1
	ds_load_b32 v8, v1 offset:32808
	s_wait_dscnt 0x0
	v_add_nc_u32_e32 v7, v8, v7
	s_or_b32 exec_lo, exec_lo, s17
	s_and_saveexec_b32 s17, s11
	s_cbranch_execz .LBB39_43
.LBB39_59:                              ;   in Loop: Header=BB39_31 Depth=1
	ds_load_b32 v8, v1 offset:32812
	s_wait_dscnt 0x0
	v_add_nc_u32_e32 v7, v8, v7
	s_or_b32 exec_lo, exec_lo, s17
	s_and_saveexec_b32 s17, s12
	s_cbranch_execz .LBB39_44
.LBB39_60:                              ;   in Loop: Header=BB39_31 Depth=1
	ds_load_b32 v8, v1 offset:32816
	s_wait_dscnt 0x0
	v_add_nc_u32_e32 v7, v8, v7
	s_or_b32 exec_lo, exec_lo, s17
	s_and_saveexec_b32 s17, s13
	s_cbranch_execz .LBB39_45
.LBB39_61:                              ;   in Loop: Header=BB39_31 Depth=1
	ds_load_b32 v8, v1 offset:32820
	s_wait_dscnt 0x0
	v_add_nc_u32_e32 v7, v8, v7
	s_or_b32 exec_lo, exec_lo, s17
	s_and_saveexec_b32 s17, s14
	s_cbranch_execz .LBB39_46
.LBB39_62:                              ;   in Loop: Header=BB39_31 Depth=1
	ds_load_b32 v8, v1 offset:32824
	s_wait_dscnt 0x0
	v_add_nc_u32_e32 v7, v8, v7
	s_or_b32 exec_lo, exec_lo, s17
	s_and_saveexec_b32 s17, s15
	s_cbranch_execz .LBB39_47
.LBB39_63:                              ;   in Loop: Header=BB39_31 Depth=1
	s_delay_alu instid0(VALU_DEP_1) | instskip(NEXT) | instid1(VALU_DEP_1)
	v_dual_lshlrev_b32 v8, 2, v5 :: v_dual_lshlrev_b32 v9, 2, v7
	v_add_nc_u32_e32 v8, 0, v8
	s_delay_alu instid0(VALU_DEP_1)
	v_add3_u32 v8, v8, v9, -4
	ds_store_b32 v8, v6
	s_or_b32 exec_lo, exec_lo, s17
	s_and_saveexec_b32 s15, vcc_lo
	s_cbranch_execz .LBB39_30
.LBB39_64:                              ;   in Loop: Header=BB39_31 Depth=1
	ds_store_b32 v1, v7 offset:32828
	s_branch .LBB39_30
.LBB39_65:
	s_or_b32 exec_lo, exec_lo, s16
	s_ashr_i32 s25, s24, 31
	s_delay_alu instid0(SALU_CYCLE_1) | instskip(NEXT) | instid1(SALU_CYCLE_1)
	s_lshl_b64 s[0:1], s[24:25], 3
	s_add_nc_u64 s[4:5], s[20:21], s[0:1]
	s_load_b128 s[0:3], s[4:5], 0x0
	s_wait_xcnt 0x0
	s_mov_b32 s4, exec_lo
	s_wait_kmcnt 0x0
	s_sub_co_i32 s3, s2, s0
	s_delay_alu instid0(SALU_CYCLE_1)
	v_cmpx_gt_i32_e64 s3, v0
	s_cbranch_execz .LBB39_75
; %bb.66:
	s_sub_co_i32 s4, s0, s2
	s_and_b32 s2, s3, 7
	s_cmp_lt_u32 s4, -7
	s_mov_b32 s19, 0
	s_cselect_b32 s4, -1, 0
	s_and_b32 s5, s3, -8
	s_cmp_lg_u32 s2, 0
	s_sub_nc_u64 s[0:1], s[0:1], s[18:19]
	s_cselect_b32 s6, -1, 0
	s_mov_b32 s7, 0
	s_branch .LBB39_68
.LBB39_67:                              ;   in Loop: Header=BB39_68 Depth=1
	v_add_nc_u32_e32 v0, 0x400, v0
	s_wait_dscnt 0x0
	v_add_nc_u32_e32 v1, s18, v1
	s_delay_alu instid0(VALU_DEP_3) | instskip(NEXT) | instid1(VALU_DEP_3)
	v_lshl_add_u64 v[2:3], v[2:3], 2, s[22:23]
	v_cmp_le_i32_e32 vcc_lo, s3, v0
	global_store_b32 v[2:3], v1, off
	s_or_b32 s7, vcc_lo, s7
	s_wait_xcnt 0x0
	s_and_not1_b32 exec_lo, exec_lo, s7
	s_cbranch_execz .LBB39_75
.LBB39_68:                              ; =>This Loop Header: Depth=1
                                        ;     Child Loop BB39_70 Depth 2
                                        ;     Child Loop BB39_74 Depth 2
	v_lshl_add_u32 v1, v0, 2, 0
	v_mov_b64_e32 v[2:3], s[0:1]
	s_and_not1_b32 vcc_lo, exec_lo, s4
	s_mov_b32 s8, 0
	ds_load_b32 v1, v1
	s_cbranch_vccnz .LBB39_72
; %bb.69:                               ;   in Loop: Header=BB39_68 Depth=1
	v_mov_b64_e32 v[2:3], s[0:1]
	s_mov_b32 s9, 0
.LBB39_70:                              ;   Parent Loop BB39_68 Depth=1
                                        ; =>  This Inner Loop Header: Depth=2
	s_delay_alu instid0(SALU_CYCLE_1)
	v_dual_mov_b32 v8, s9 :: v_dual_mov_b32 v9, s19
	v_mov_b32_e32 v15, s19
	s_add_co_i32 s8, s8, 8
	s_add_co_i32 s9, s9, 32
	ds_load_2addr_b32 v[4:5], v8 offset1:1
	ds_load_2addr_b32 v[6:7], v8 offset0:2 offset1:3
	ds_load_2addr_b32 v[10:11], v8 offset0:4 offset1:5
	;; [unrolled: 1-line block ×3, first 2 shown]
	s_cmp_eq_u32 s5, s8
	s_wait_dscnt 0x3
	v_cmp_gt_i32_e32 vcc_lo, v1, v4
	v_cndmask_b32_e64 v8, 0, 1, vcc_lo
	v_cmp_gt_i32_e32 vcc_lo, v1, v5
	v_mov_b32_e32 v5, s19
	s_delay_alu instid0(VALU_DEP_3) | instskip(SKIP_4) | instid1(VALU_DEP_3)
	v_add_nc_u64_e32 v[2:3], v[2:3], v[8:9]
	v_cndmask_b32_e64 v14, 0, 1, vcc_lo
	s_wait_dscnt 0x2
	v_cmp_gt_i32_e32 vcc_lo, v1, v6
	v_cndmask_b32_e64 v4, 0, 1, vcc_lo
	v_add_nc_u64_e32 v[2:3], v[2:3], v[14:15]
	v_cmp_gt_i32_e32 vcc_lo, v1, v7
	v_mov_b32_e32 v7, s19
	v_cndmask_b32_e64 v8, 0, 1, vcc_lo
	s_delay_alu instid0(VALU_DEP_4) | instskip(SKIP_3) | instid1(VALU_DEP_3)
	v_add_nc_u64_e32 v[2:3], v[2:3], v[4:5]
	s_wait_dscnt 0x1
	v_cmp_gt_i32_e32 vcc_lo, v1, v10
	v_cndmask_b32_e64 v4, 0, 1, vcc_lo
	v_add_nc_u64_e32 v[2:3], v[2:3], v[8:9]
	v_cmp_gt_i32_e32 vcc_lo, v1, v11
	v_cndmask_b32_e64 v6, 0, 1, vcc_lo
	s_delay_alu instid0(VALU_DEP_3) | instskip(SKIP_3) | instid1(VALU_DEP_3)
	v_add_nc_u64_e32 v[2:3], v[2:3], v[4:5]
	s_wait_dscnt 0x0
	v_cmp_gt_i32_e32 vcc_lo, v1, v12
	v_cndmask_b32_e64 v4, 0, 1, vcc_lo
	v_add_nc_u64_e32 v[2:3], v[2:3], v[6:7]
	v_cmp_gt_i32_e32 vcc_lo, v1, v13
	v_cndmask_b32_e64 v6, 0, 1, vcc_lo
	s_delay_alu instid0(VALU_DEP_3) | instskip(NEXT) | instid1(VALU_DEP_1)
	v_add_nc_u64_e32 v[2:3], v[2:3], v[4:5]
	v_add_nc_u64_e32 v[2:3], v[2:3], v[6:7]
	s_cbranch_scc0 .LBB39_70
; %bb.71:                               ;   in Loop: Header=BB39_68 Depth=1
	s_mov_b32 s8, s5
.LBB39_72:                              ;   in Loop: Header=BB39_68 Depth=1
	s_and_not1_b32 vcc_lo, exec_lo, s6
	s_cbranch_vccnz .LBB39_67
; %bb.73:                               ;   in Loop: Header=BB39_68 Depth=1
	s_lshl_b32 s8, s8, 2
	s_mov_b32 s9, s2
	s_add_co_i32 s8, s8, 0
.LBB39_74:                              ;   Parent Loop BB39_68 Depth=1
                                        ; =>  This Inner Loop Header: Depth=2
	s_delay_alu instid0(SALU_CYCLE_1)
	v_dual_mov_b32 v4, s8 :: v_dual_mov_b32 v5, s19
	s_add_co_i32 s9, s9, -1
	s_add_co_i32 s8, s8, 4
	s_cmp_lg_u32 s9, 0
	ds_load_b32 v4, v4
	s_wait_dscnt 0x0
	v_cmp_gt_i32_e32 vcc_lo, v1, v4
	v_cndmask_b32_e64 v4, 0, 1, vcc_lo
	s_delay_alu instid0(VALU_DEP_1)
	v_add_nc_u64_e32 v[2:3], v[2:3], v[4:5]
	s_cbranch_scc1 .LBB39_74
	s_branch .LBB39_67
.LBB39_75:
	s_endpgm
	.section	.rodata,"a",@progbits
	.p2align	6, 0x0
	.amdhsa_kernel _ZN9rocsparseL35csrgemm_symbolic_fill_block_per_rowILj1024ELj64ELj8192ELj137ELj64EliEEvT5_PKS1_S3_PKT4_S3_S6_S3_S6_S3_S6_PS1_21rocsparse_index_base_S8_S8_S8_bb
		.amdhsa_group_segment_fixed_size 0
		.amdhsa_private_segment_fixed_size 0
		.amdhsa_kernarg_size 108
		.amdhsa_user_sgpr_count 2
		.amdhsa_user_sgpr_dispatch_ptr 0
		.amdhsa_user_sgpr_queue_ptr 0
		.amdhsa_user_sgpr_kernarg_segment_ptr 1
		.amdhsa_user_sgpr_dispatch_id 0
		.amdhsa_user_sgpr_kernarg_preload_length 0
		.amdhsa_user_sgpr_kernarg_preload_offset 0
		.amdhsa_user_sgpr_private_segment_size 0
		.amdhsa_wavefront_size32 1
		.amdhsa_uses_dynamic_stack 0
		.amdhsa_enable_private_segment 0
		.amdhsa_system_sgpr_workgroup_id_x 1
		.amdhsa_system_sgpr_workgroup_id_y 0
		.amdhsa_system_sgpr_workgroup_id_z 0
		.amdhsa_system_sgpr_workgroup_info 0
		.amdhsa_system_vgpr_workitem_id 0
		.amdhsa_next_free_vgpr 18
		.amdhsa_next_free_sgpr 28
		.amdhsa_named_barrier_count 0
		.amdhsa_reserve_vcc 1
		.amdhsa_float_round_mode_32 0
		.amdhsa_float_round_mode_16_64 0
		.amdhsa_float_denorm_mode_32 3
		.amdhsa_float_denorm_mode_16_64 3
		.amdhsa_fp16_overflow 0
		.amdhsa_memory_ordered 1
		.amdhsa_forward_progress 1
		.amdhsa_inst_pref_size 22
		.amdhsa_round_robin_scheduling 0
		.amdhsa_exception_fp_ieee_invalid_op 0
		.amdhsa_exception_fp_denorm_src 0
		.amdhsa_exception_fp_ieee_div_zero 0
		.amdhsa_exception_fp_ieee_overflow 0
		.amdhsa_exception_fp_ieee_underflow 0
		.amdhsa_exception_fp_ieee_inexact 0
		.amdhsa_exception_int_div_zero 0
	.end_amdhsa_kernel
	.section	.text._ZN9rocsparseL35csrgemm_symbolic_fill_block_per_rowILj1024ELj64ELj8192ELj137ELj64EliEEvT5_PKS1_S3_PKT4_S3_S6_S3_S6_S3_S6_PS1_21rocsparse_index_base_S8_S8_S8_bb,"axG",@progbits,_ZN9rocsparseL35csrgemm_symbolic_fill_block_per_rowILj1024ELj64ELj8192ELj137ELj64EliEEvT5_PKS1_S3_PKT4_S3_S6_S3_S6_S3_S6_PS1_21rocsparse_index_base_S8_S8_S8_bb,comdat
.Lfunc_end39:
	.size	_ZN9rocsparseL35csrgemm_symbolic_fill_block_per_rowILj1024ELj64ELj8192ELj137ELj64EliEEvT5_PKS1_S3_PKT4_S3_S6_S3_S6_S3_S6_PS1_21rocsparse_index_base_S8_S8_S8_bb, .Lfunc_end39-_ZN9rocsparseL35csrgemm_symbolic_fill_block_per_rowILj1024ELj64ELj8192ELj137ELj64EliEEvT5_PKS1_S3_PKT4_S3_S6_S3_S6_S3_S6_PS1_21rocsparse_index_base_S8_S8_S8_bb
                                        ; -- End function
	.set _ZN9rocsparseL35csrgemm_symbolic_fill_block_per_rowILj1024ELj64ELj8192ELj137ELj64EliEEvT5_PKS1_S3_PKT4_S3_S6_S3_S6_S3_S6_PS1_21rocsparse_index_base_S8_S8_S8_bb.num_vgpr, 18
	.set _ZN9rocsparseL35csrgemm_symbolic_fill_block_per_rowILj1024ELj64ELj8192ELj137ELj64EliEEvT5_PKS1_S3_PKT4_S3_S6_S3_S6_S3_S6_PS1_21rocsparse_index_base_S8_S8_S8_bb.num_agpr, 0
	.set _ZN9rocsparseL35csrgemm_symbolic_fill_block_per_rowILj1024ELj64ELj8192ELj137ELj64EliEEvT5_PKS1_S3_PKT4_S3_S6_S3_S6_S3_S6_PS1_21rocsparse_index_base_S8_S8_S8_bb.numbered_sgpr, 28
	.set _ZN9rocsparseL35csrgemm_symbolic_fill_block_per_rowILj1024ELj64ELj8192ELj137ELj64EliEEvT5_PKS1_S3_PKT4_S3_S6_S3_S6_S3_S6_PS1_21rocsparse_index_base_S8_S8_S8_bb.num_named_barrier, 0
	.set _ZN9rocsparseL35csrgemm_symbolic_fill_block_per_rowILj1024ELj64ELj8192ELj137ELj64EliEEvT5_PKS1_S3_PKT4_S3_S6_S3_S6_S3_S6_PS1_21rocsparse_index_base_S8_S8_S8_bb.private_seg_size, 0
	.set _ZN9rocsparseL35csrgemm_symbolic_fill_block_per_rowILj1024ELj64ELj8192ELj137ELj64EliEEvT5_PKS1_S3_PKT4_S3_S6_S3_S6_S3_S6_PS1_21rocsparse_index_base_S8_S8_S8_bb.uses_vcc, 1
	.set _ZN9rocsparseL35csrgemm_symbolic_fill_block_per_rowILj1024ELj64ELj8192ELj137ELj64EliEEvT5_PKS1_S3_PKT4_S3_S6_S3_S6_S3_S6_PS1_21rocsparse_index_base_S8_S8_S8_bb.uses_flat_scratch, 0
	.set _ZN9rocsparseL35csrgemm_symbolic_fill_block_per_rowILj1024ELj64ELj8192ELj137ELj64EliEEvT5_PKS1_S3_PKT4_S3_S6_S3_S6_S3_S6_PS1_21rocsparse_index_base_S8_S8_S8_bb.has_dyn_sized_stack, 0
	.set _ZN9rocsparseL35csrgemm_symbolic_fill_block_per_rowILj1024ELj64ELj8192ELj137ELj64EliEEvT5_PKS1_S3_PKT4_S3_S6_S3_S6_S3_S6_PS1_21rocsparse_index_base_S8_S8_S8_bb.has_recursion, 0
	.set _ZN9rocsparseL35csrgemm_symbolic_fill_block_per_rowILj1024ELj64ELj8192ELj137ELj64EliEEvT5_PKS1_S3_PKT4_S3_S6_S3_S6_S3_S6_PS1_21rocsparse_index_base_S8_S8_S8_bb.has_indirect_call, 0
	.section	.AMDGPU.csdata,"",@progbits
; Kernel info:
; codeLenInByte = 2776
; TotalNumSgprs: 30
; NumVgprs: 18
; ScratchSize: 0
; MemoryBound: 0
; FloatMode: 240
; IeeeMode: 1
; LDSByteSize: 0 bytes/workgroup (compile time only)
; SGPRBlocks: 0
; VGPRBlocks: 1
; NumSGPRsForWavesPerEU: 30
; NumVGPRsForWavesPerEU: 18
; NamedBarCnt: 0
; Occupancy: 16
; WaveLimiterHint : 1
; COMPUTE_PGM_RSRC2:SCRATCH_EN: 0
; COMPUTE_PGM_RSRC2:USER_SGPR: 2
; COMPUTE_PGM_RSRC2:TRAP_HANDLER: 0
; COMPUTE_PGM_RSRC2:TGID_X_EN: 1
; COMPUTE_PGM_RSRC2:TGID_Y_EN: 0
; COMPUTE_PGM_RSRC2:TGID_Z_EN: 0
; COMPUTE_PGM_RSRC2:TIDIG_COMP_CNT: 0
	.section	.text._ZN9rocsparseL35csrgemm_symbolic_fill_block_per_rowILj1024ELj64ELj16384ELj137ELj32EliEEvT5_PKS1_S3_PKT4_S3_S6_S3_S6_S3_S6_PS1_21rocsparse_index_base_S8_S8_S8_bb,"axG",@progbits,_ZN9rocsparseL35csrgemm_symbolic_fill_block_per_rowILj1024ELj64ELj16384ELj137ELj32EliEEvT5_PKS1_S3_PKT4_S3_S6_S3_S6_S3_S6_PS1_21rocsparse_index_base_S8_S8_S8_bb,comdat
	.globl	_ZN9rocsparseL35csrgemm_symbolic_fill_block_per_rowILj1024ELj64ELj16384ELj137ELj32EliEEvT5_PKS1_S3_PKT4_S3_S6_S3_S6_S3_S6_PS1_21rocsparse_index_base_S8_S8_S8_bb ; -- Begin function _ZN9rocsparseL35csrgemm_symbolic_fill_block_per_rowILj1024ELj64ELj16384ELj137ELj32EliEEvT5_PKS1_S3_PKT4_S3_S6_S3_S6_S3_S6_PS1_21rocsparse_index_base_S8_S8_S8_bb
	.p2align	8
	.type	_ZN9rocsparseL35csrgemm_symbolic_fill_block_per_rowILj1024ELj64ELj16384ELj137ELj32EliEEvT5_PKS1_S3_PKT4_S3_S6_S3_S6_S3_S6_PS1_21rocsparse_index_base_S8_S8_S8_bb,@function
_ZN9rocsparseL35csrgemm_symbolic_fill_block_per_rowILj1024ELj64ELj16384ELj137ELj32EliEEvT5_PKS1_S3_PKT4_S3_S6_S3_S6_S3_S6_PS1_21rocsparse_index_base_S8_S8_S8_bb: ; @_ZN9rocsparseL35csrgemm_symbolic_fill_block_per_rowILj1024ELj64ELj16384ELj137ELj32EliEEvT5_PKS1_S3_PKT4_S3_S6_S3_S6_S3_S6_PS1_21rocsparse_index_base_S8_S8_S8_bb
; %bb.0:
	s_clause 0x3
	s_load_b32 s33, s[0:1], 0x0
	s_load_b128 s[36:39], s[0:1], 0x48
	s_load_b256 s[4:11], s[0:1], 0x28
	s_load_b256 s[12:19], s[0:1], 0x8
	v_lshl_add_u32 v10, v0, 2, 0
	v_or_b32_e32 v11, 0xfffffc00, v0
	s_mov_b32 s2, 0
	s_delay_alu instid0(VALU_DEP_1)
	v_dual_mov_b32 v1, v10 :: v_dual_mov_b32 v3, v11
	s_wait_kmcnt 0x0
	v_mov_b32_e32 v2, s33
.LBB40_1:                               ; =>This Inner Loop Header: Depth=1
	s_delay_alu instid0(VALU_DEP_2) | instskip(SKIP_4) | instid1(SALU_CYCLE_1)
	v_add_nc_u32_e32 v3, 0x400, v3
	ds_store_b32 v1, v2
	v_add_nc_u32_e32 v1, 0x1000, v1
	v_cmp_lt_u32_e32 vcc_lo, 0x3bff, v3
	s_or_b32 s2, vcc_lo, s2
	s_and_not1_b32 exec_lo, exec_lo, s2
	s_cbranch_execnz .LBB40_1
; %bb.2:
	s_or_b32 exec_lo, exec_lo, s2
	s_load_b32 s20, s[0:1], 0x68
	s_wait_dscnt 0x0
	s_barrier_signal -1
	s_barrier_wait -1
	s_load_b32 s2, s[12:13], 0x0
	s_getreg_b32 s21, hwreg(HW_REG_IB_STS2, 6, 4)
	s_wait_kmcnt 0x0
	s_bitcmp1_b32 s20, 0
	s_cselect_b32 s3, -1, 0
	s_bfe_u32 s12, ttmp6, 0x4000c
	s_and_b32 s13, ttmp6, 15
	s_add_co_i32 s12, s12, 1
	s_delay_alu instid0(SALU_CYCLE_1) | instskip(NEXT) | instid1(SALU_CYCLE_1)
	s_mul_i32 s12, ttmp9, s12
	s_add_co_i32 s13, s13, s12
	s_cmp_eq_u32 s21, 0
	s_cselect_b32 s12, ttmp9, s13
	s_and_b32 vcc_lo, exec_lo, s3
	s_add_co_i32 s2, s2, s12
	s_load_b128 s[40:43], s[0:1], 0x58
	s_load_b32 s34, s[14:15], s2 offset:0x0 scale_offset
	s_wait_xcnt 0x0
	s_mov_b32 s1, 0
	s_cbranch_vccz .LBB40_18
; %bb.3:
	s_wait_kmcnt 0x0
	s_ashr_i32 s35, s34, 31
	v_dual_mov_b32 v5, 0 :: v_dual_lshrrev_b32 v4, 6, v0
	s_lshl_b64 s[2:3], s[34:35], 3
	s_mov_b32 s0, s40
	s_add_nc_u64 s[2:3], s[16:17], s[2:3]
	s_load_b128 s[12:15], s[2:3], 0x0
	v_sub_nc_u64_e64 v[2:3], v[4:5], s[0:1]
	s_wait_kmcnt 0x0
	s_delay_alu instid0(VALU_DEP_1) | instskip(SKIP_2) | instid1(VALU_DEP_1)
	v_add_nc_u64_e32 v[2:3], s[12:13], v[2:3]
	s_sub_nc_u64 s[0:1], s[14:15], s[0:1]
	s_mov_b32 s12, exec_lo
	v_cmpx_gt_i64_e64 s[0:1], v[2:3]
	s_cbranch_execz .LBB40_17
; %bb.4:
	v_and_b32_e32 v4, 63, v0
	s_mov_b32 s3, 0
	s_mov_b32 s2, s41
	;; [unrolled: 1-line block ×3, first 2 shown]
	s_delay_alu instid0(VALU_DEP_1)
	v_sub_nc_u64_e64 v[4:5], v[4:5], s[2:3]
	s_branch .LBB40_6
.LBB40_5:                               ;   in Loop: Header=BB40_6 Depth=1
	s_or_b32 exec_lo, exec_lo, s14
	v_add_nc_u64_e32 v[2:3], 16, v[2:3]
	s_delay_alu instid0(VALU_DEP_1) | instskip(SKIP_1) | instid1(SALU_CYCLE_1)
	v_cmp_le_i64_e32 vcc_lo, s[0:1], v[2:3]
	s_or_b32 s13, vcc_lo, s13
	s_and_not1_b32 exec_lo, exec_lo, s13
	s_cbranch_execz .LBB40_17
.LBB40_6:                               ; =>This Loop Header: Depth=1
                                        ;     Child Loop BB40_9 Depth 2
                                        ;       Child Loop BB40_12 Depth 3
	v_lshl_add_u64 v[6:7], v[2:3], 2, s[18:19]
	s_mov_b32 s14, exec_lo
	global_load_b32 v1, v[6:7], off
	s_wait_loadcnt 0x0
	v_subrev_nc_u32_e32 v6, s40, v1
	s_delay_alu instid0(VALU_DEP_1) | instskip(NEXT) | instid1(VALU_DEP_1)
	v_ashrrev_i32_e32 v7, 31, v6
	v_lshl_add_u64 v[6:7], v[6:7], 3, s[4:5]
	global_load_b128 v[12:15], v[6:7], off
	s_wait_loadcnt 0x0
	v_sub_nc_u64_e64 v[6:7], v[14:15], s[2:3]
	v_add_nc_u64_e32 v[8:9], v[12:13], v[4:5]
	s_delay_alu instid0(VALU_DEP_1)
	v_cmpx_lt_i64_e64 v[8:9], v[6:7]
	s_cbranch_execz .LBB40_5
; %bb.7:                                ;   in Loop: Header=BB40_6 Depth=1
	s_mov_b32 s15, 0
	s_branch .LBB40_9
.LBB40_8:                               ;   in Loop: Header=BB40_9 Depth=2
	s_or_b32 exec_lo, exec_lo, s16
	v_add_nc_u64_e32 v[8:9], 64, v[8:9]
	s_delay_alu instid0(VALU_DEP_1) | instskip(SKIP_1) | instid1(SALU_CYCLE_1)
	v_cmp_ge_i64_e32 vcc_lo, v[8:9], v[6:7]
	s_or_b32 s15, vcc_lo, s15
	s_and_not1_b32 exec_lo, exec_lo, s15
	s_cbranch_execz .LBB40_5
.LBB40_9:                               ;   Parent Loop BB40_6 Depth=1
                                        ; =>  This Loop Header: Depth=2
                                        ;       Child Loop BB40_12 Depth 3
	v_lshl_add_u64 v[12:13], v[8:9], 2, s[6:7]
	s_mov_b32 s16, 0
                                        ; implicit-def: $sgpr17
	global_load_b32 v1, v[12:13], off
	s_wait_loadcnt 0x0
	v_subrev_nc_u32_e32 v1, s41, v1
	s_delay_alu instid0(VALU_DEP_1) | instskip(NEXT) | instid1(VALU_DEP_1)
	v_mul_lo_u32 v12, 0x89, v1
	v_and_b32_e32 v12, 0x3fff, v12
	s_branch .LBB40_12
.LBB40_10:                              ;   in Loop: Header=BB40_12 Depth=3
	s_or_b32 exec_lo, exec_lo, s22
	s_delay_alu instid0(SALU_CYCLE_1) | instskip(SKIP_1) | instid1(SALU_CYCLE_1)
	s_and_not1_b32 s17, s17, exec_lo
	s_and_b32 s22, s23, exec_lo
	s_or_b32 s17, s17, s22
.LBB40_11:                              ;   in Loop: Header=BB40_12 Depth=3
	s_or_b32 exec_lo, exec_lo, s21
	s_xor_b32 s21, s17, -1
	s_delay_alu instid0(SALU_CYCLE_1) | instskip(NEXT) | instid1(SALU_CYCLE_1)
	s_and_b32 s21, exec_lo, s21
	s_or_b32 s16, s21, s16
	s_delay_alu instid0(SALU_CYCLE_1)
	s_and_not1_b32 exec_lo, exec_lo, s16
	s_cbranch_execz .LBB40_8
.LBB40_12:                              ;   Parent Loop BB40_6 Depth=1
                                        ;     Parent Loop BB40_9 Depth=2
                                        ; =>    This Inner Loop Header: Depth=3
	s_delay_alu instid0(VALU_DEP_1)
	v_lshl_add_u32 v13, v12, 2, 0
	s_and_not1_b32 s17, s17, exec_lo
	s_mov_b32 s21, exec_lo
	ds_load_b32 v14, v13
	s_wait_dscnt 0x0
	v_cmpx_ne_u32_e64 v14, v1
	s_cbranch_execz .LBB40_11
; %bb.13:                               ;   in Loop: Header=BB40_12 Depth=3
	s_mov_b32 s22, exec_lo
	v_cmpx_ne_u32_e64 s33, v14
	s_xor_b32 s22, exec_lo, s22
; %bb.14:                               ;   in Loop: Header=BB40_12 Depth=3
	v_add_nc_u32_e32 v12, 1, v12
                                        ; implicit-def: $vgpr13
	s_delay_alu instid0(VALU_DEP_1)
	v_and_b32_e32 v12, 0x3fff, v12
; %bb.15:                               ;   in Loop: Header=BB40_12 Depth=3
	s_or_saveexec_b32 s22, s22
	s_mov_b32 s23, -1
	s_xor_b32 exec_lo, exec_lo, s22
	s_cbranch_execz .LBB40_10
; %bb.16:                               ;   in Loop: Header=BB40_12 Depth=3
	v_mov_b32_e32 v14, s33
	ds_cmpstore_rtn_b32 v13, v13, v1, v14
	s_wait_dscnt 0x0
	v_cmp_ne_u32_e32 vcc_lo, s33, v13
	s_or_not1_b32 s23, vcc_lo, exec_lo
	s_branch .LBB40_10
.LBB40_17:
	s_or_b32 exec_lo, exec_lo, s12
.LBB40_18:
	s_bfe_u32 s0, s20, 0x10008
	s_delay_alu instid0(SALU_CYCLE_1)
	s_cmp_eq_u32 s0, 0
	s_cbranch_scc1 .LBB40_21
; %bb.19:
	s_wait_kmcnt 0x0
	s_ashr_i32 s35, s34, 31
	v_mov_b32_e32 v1, 0
	s_lshl_b64 s[0:1], s[34:35], 3
	s_delay_alu instid0(SALU_CYCLE_1) | instskip(SKIP_4) | instid1(SALU_CYCLE_1)
	s_add_nc_u64 s[0:1], s[8:9], s[0:1]
	s_load_b128 s[4:7], s[0:1], 0x0
	s_wait_xcnt 0x0
	s_mov_b32 s1, 0
	s_mov_b32 s0, s43
	v_sub_nc_u64_e64 v[2:3], v[0:1], s[0:1]
	s_wait_kmcnt 0x0
	s_delay_alu instid0(VALU_DEP_1) | instskip(SKIP_2) | instid1(VALU_DEP_1)
	v_add_nc_u64_e32 v[2:3], s[4:5], v[2:3]
	s_sub_nc_u64 s[2:3], s[6:7], s[0:1]
	s_mov_b32 s0, exec_lo
	v_cmpx_gt_i64_e64 s[2:3], v[2:3]
	s_cbranch_execnz .LBB40_90
.LBB40_20:
	s_or_b32 exec_lo, exec_lo, s0
.LBB40_21:
	v_mbcnt_lo_u32_b32 v1, -1, 0
	v_lshrrev_b32_e32 v2, 3, v0
	v_cmp_lt_u32_e64 s0, 31, v0
	v_cmp_lt_u32_e64 s1, 63, v0
	;; [unrolled: 1-line block ×3, first 2 shown]
	v_xor_b32_e32 v3, 31, v1
	v_and_b32_e32 v4, 0x7c, v2
	v_mov_b32_e32 v1, 0
	v_cmp_lt_u32_e64 s3, 0x7f, v0
	v_cmp_lt_u32_e64 s4, 0x9f, v0
	v_lshrrev_b32_e64 v2, v3, -1
	v_add3_u32 v3, 0x10000, 0, v4
	v_cmp_lt_u32_e64 s5, 0xbf, v0
	v_cmp_lt_u32_e64 s6, 0xdf, v0
	;; [unrolled: 1-line block ×26, first 2 shown]
	s_mov_b32 s35, 0
	s_wait_kmcnt 0x0
	s_add_co_i32 s40, 0, 0x10000
	s_add_co_i32 s41, 0, 0x10004
	;; [unrolled: 1-line block ×32, first 2 shown]
	s_barrier_signal -1
	s_barrier_wait -1
	v_cmp_eq_u32_e32 vcc_lo, 0x3ff, v0
	s_branch .LBB40_23
.LBB40_22:                              ;   in Loop: Header=BB40_23 Depth=1
	s_or_b32 exec_lo, exec_lo, s31
	v_dual_mov_b32 v4, s72 :: v_dual_add_nc_u32 v11, 0x400, v11
	s_wait_dscnt 0x0
	s_barrier_signal -1
	s_barrier_wait -1
	ds_load_b32 v4, v4
	v_cmp_lt_u32_e64 s31, 0x3bff, v11
	v_add_nc_u32_e32 v10, 0x1000, v10
	s_or_b32 s35, s31, s35
	s_wait_dscnt 0x0
	v_add_nc_u32_e32 v1, v4, v1
	s_and_not1_b32 exec_lo, exec_lo, s35
	s_cbranch_execz .LBB40_98
.LBB40_23:                              ; =>This Inner Loop Header: Depth=1
	ds_load_b32 v4, v10
	s_wait_dscnt 0x0
	s_barrier_signal -1
	s_barrier_wait -1
	v_cmp_gt_i32_e64 s31, s33, v4
	s_bcnt1_i32_b32 s73, s31
	s_delay_alu instid0(SALU_CYCLE_1) | instskip(NEXT) | instid1(VALU_DEP_1)
	v_dual_mov_b32 v6, s73 :: v_dual_bitop2_b32 v5, s31, v2 bitop3:0x40
	v_bcnt_u32_b32 v5, v5, 0
	ds_store_b32 v3, v6
	s_wait_dscnt 0x0
	s_barrier_signal -1
	s_barrier_wait -1
	s_and_saveexec_b32 s73, s0
	s_cbranch_execnz .LBB40_56
; %bb.24:                               ;   in Loop: Header=BB40_23 Depth=1
	s_or_b32 exec_lo, exec_lo, s73
	s_and_saveexec_b32 s73, s1
	s_cbranch_execnz .LBB40_57
.LBB40_25:                              ;   in Loop: Header=BB40_23 Depth=1
	s_or_b32 exec_lo, exec_lo, s73
	s_and_saveexec_b32 s73, s2
	s_cbranch_execnz .LBB40_58
.LBB40_26:                              ;   in Loop: Header=BB40_23 Depth=1
	s_or_b32 exec_lo, exec_lo, s73
	s_and_saveexec_b32 s73, s3
	s_cbranch_execnz .LBB40_59
.LBB40_27:                              ;   in Loop: Header=BB40_23 Depth=1
	s_or_b32 exec_lo, exec_lo, s73
	s_and_saveexec_b32 s73, s4
	s_cbranch_execnz .LBB40_60
.LBB40_28:                              ;   in Loop: Header=BB40_23 Depth=1
	s_or_b32 exec_lo, exec_lo, s73
	s_and_saveexec_b32 s73, s5
	s_cbranch_execnz .LBB40_61
.LBB40_29:                              ;   in Loop: Header=BB40_23 Depth=1
	s_or_b32 exec_lo, exec_lo, s73
	s_and_saveexec_b32 s73, s6
	s_cbranch_execnz .LBB40_62
.LBB40_30:                              ;   in Loop: Header=BB40_23 Depth=1
	s_or_b32 exec_lo, exec_lo, s73
	s_and_saveexec_b32 s73, s7
	s_cbranch_execnz .LBB40_63
.LBB40_31:                              ;   in Loop: Header=BB40_23 Depth=1
	s_or_b32 exec_lo, exec_lo, s73
	s_and_saveexec_b32 s73, s8
	s_cbranch_execnz .LBB40_64
.LBB40_32:                              ;   in Loop: Header=BB40_23 Depth=1
	s_or_b32 exec_lo, exec_lo, s73
	s_and_saveexec_b32 s73, s9
	s_cbranch_execnz .LBB40_65
.LBB40_33:                              ;   in Loop: Header=BB40_23 Depth=1
	s_or_b32 exec_lo, exec_lo, s73
	s_and_saveexec_b32 s73, s10
	s_cbranch_execnz .LBB40_66
.LBB40_34:                              ;   in Loop: Header=BB40_23 Depth=1
	s_or_b32 exec_lo, exec_lo, s73
	s_and_saveexec_b32 s73, s11
	s_cbranch_execnz .LBB40_67
.LBB40_35:                              ;   in Loop: Header=BB40_23 Depth=1
	s_or_b32 exec_lo, exec_lo, s73
	s_and_saveexec_b32 s73, s12
	s_cbranch_execnz .LBB40_68
.LBB40_36:                              ;   in Loop: Header=BB40_23 Depth=1
	s_or_b32 exec_lo, exec_lo, s73
	s_and_saveexec_b32 s73, s13
	s_cbranch_execnz .LBB40_69
.LBB40_37:                              ;   in Loop: Header=BB40_23 Depth=1
	s_or_b32 exec_lo, exec_lo, s73
	s_and_saveexec_b32 s73, s14
	s_cbranch_execnz .LBB40_70
.LBB40_38:                              ;   in Loop: Header=BB40_23 Depth=1
	s_or_b32 exec_lo, exec_lo, s73
	s_and_saveexec_b32 s73, s15
	s_cbranch_execnz .LBB40_71
.LBB40_39:                              ;   in Loop: Header=BB40_23 Depth=1
	s_or_b32 exec_lo, exec_lo, s73
	s_and_saveexec_b32 s73, s16
	s_cbranch_execnz .LBB40_72
.LBB40_40:                              ;   in Loop: Header=BB40_23 Depth=1
	s_or_b32 exec_lo, exec_lo, s73
	s_and_saveexec_b32 s73, s17
	s_cbranch_execnz .LBB40_73
.LBB40_41:                              ;   in Loop: Header=BB40_23 Depth=1
	s_or_b32 exec_lo, exec_lo, s73
	s_and_saveexec_b32 s73, s18
	s_cbranch_execnz .LBB40_74
.LBB40_42:                              ;   in Loop: Header=BB40_23 Depth=1
	s_or_b32 exec_lo, exec_lo, s73
	s_and_saveexec_b32 s73, s19
	s_cbranch_execnz .LBB40_75
.LBB40_43:                              ;   in Loop: Header=BB40_23 Depth=1
	s_or_b32 exec_lo, exec_lo, s73
	s_and_saveexec_b32 s73, s20
	s_cbranch_execnz .LBB40_76
.LBB40_44:                              ;   in Loop: Header=BB40_23 Depth=1
	s_or_b32 exec_lo, exec_lo, s73
	s_and_saveexec_b32 s73, s21
	s_cbranch_execnz .LBB40_77
.LBB40_45:                              ;   in Loop: Header=BB40_23 Depth=1
	s_or_b32 exec_lo, exec_lo, s73
	s_and_saveexec_b32 s73, s22
	s_cbranch_execnz .LBB40_78
.LBB40_46:                              ;   in Loop: Header=BB40_23 Depth=1
	s_or_b32 exec_lo, exec_lo, s73
	s_and_saveexec_b32 s73, s23
	s_cbranch_execnz .LBB40_79
.LBB40_47:                              ;   in Loop: Header=BB40_23 Depth=1
	s_or_b32 exec_lo, exec_lo, s73
	s_and_saveexec_b32 s73, s24
	s_cbranch_execnz .LBB40_80
.LBB40_48:                              ;   in Loop: Header=BB40_23 Depth=1
	s_or_b32 exec_lo, exec_lo, s73
	s_and_saveexec_b32 s73, s25
	s_cbranch_execnz .LBB40_81
.LBB40_49:                              ;   in Loop: Header=BB40_23 Depth=1
	s_or_b32 exec_lo, exec_lo, s73
	s_and_saveexec_b32 s73, s26
	s_cbranch_execnz .LBB40_82
.LBB40_50:                              ;   in Loop: Header=BB40_23 Depth=1
	s_or_b32 exec_lo, exec_lo, s73
	s_and_saveexec_b32 s73, s27
	s_cbranch_execnz .LBB40_83
.LBB40_51:                              ;   in Loop: Header=BB40_23 Depth=1
	s_or_b32 exec_lo, exec_lo, s73
	s_and_saveexec_b32 s73, s28
	s_cbranch_execnz .LBB40_84
.LBB40_52:                              ;   in Loop: Header=BB40_23 Depth=1
	s_or_b32 exec_lo, exec_lo, s73
	s_and_saveexec_b32 s73, s29
	s_cbranch_execnz .LBB40_85
.LBB40_53:                              ;   in Loop: Header=BB40_23 Depth=1
	s_or_b32 exec_lo, exec_lo, s73
	s_and_saveexec_b32 s73, s30
	s_cbranch_execnz .LBB40_86
.LBB40_54:                              ;   in Loop: Header=BB40_23 Depth=1
	s_or_b32 exec_lo, exec_lo, s73
	s_and_saveexec_b32 s73, s31
	s_cbranch_execnz .LBB40_87
.LBB40_55:                              ;   in Loop: Header=BB40_23 Depth=1
	s_or_b32 exec_lo, exec_lo, s73
	s_and_saveexec_b32 s31, vcc_lo
	s_cbranch_execz .LBB40_22
	s_branch .LBB40_88
.LBB40_56:                              ;   in Loop: Header=BB40_23 Depth=1
	v_mov_b32_e32 v6, s40
	ds_load_b32 v6, v6
	s_wait_dscnt 0x0
	v_add_nc_u32_e32 v5, v6, v5
	s_or_b32 exec_lo, exec_lo, s73
	s_and_saveexec_b32 s73, s1
	s_cbranch_execz .LBB40_25
.LBB40_57:                              ;   in Loop: Header=BB40_23 Depth=1
	v_mov_b32_e32 v6, s41
	ds_load_b32 v6, v6
	s_wait_dscnt 0x0
	v_add_nc_u32_e32 v5, v6, v5
	s_or_b32 exec_lo, exec_lo, s73
	s_and_saveexec_b32 s73, s2
	s_cbranch_execz .LBB40_26
.LBB40_58:                              ;   in Loop: Header=BB40_23 Depth=1
	v_mov_b32_e32 v6, s43
	ds_load_b32 v6, v6
	s_wait_dscnt 0x0
	v_add_nc_u32_e32 v5, v6, v5
	s_or_b32 exec_lo, exec_lo, s73
	s_and_saveexec_b32 s73, s3
	s_cbranch_execz .LBB40_27
.LBB40_59:                              ;   in Loop: Header=BB40_23 Depth=1
	v_mov_b32_e32 v6, s44
	ds_load_b32 v6, v6
	s_wait_dscnt 0x0
	v_add_nc_u32_e32 v5, v6, v5
	s_or_b32 exec_lo, exec_lo, s73
	s_and_saveexec_b32 s73, s4
	s_cbranch_execz .LBB40_28
.LBB40_60:                              ;   in Loop: Header=BB40_23 Depth=1
	v_mov_b32_e32 v6, s45
	ds_load_b32 v6, v6
	s_wait_dscnt 0x0
	v_add_nc_u32_e32 v5, v6, v5
	s_or_b32 exec_lo, exec_lo, s73
	s_and_saveexec_b32 s73, s5
	s_cbranch_execz .LBB40_29
.LBB40_61:                              ;   in Loop: Header=BB40_23 Depth=1
	v_mov_b32_e32 v6, s46
	ds_load_b32 v6, v6
	s_wait_dscnt 0x0
	v_add_nc_u32_e32 v5, v6, v5
	s_or_b32 exec_lo, exec_lo, s73
	s_and_saveexec_b32 s73, s6
	s_cbranch_execz .LBB40_30
.LBB40_62:                              ;   in Loop: Header=BB40_23 Depth=1
	v_mov_b32_e32 v6, s47
	ds_load_b32 v6, v6
	s_wait_dscnt 0x0
	v_add_nc_u32_e32 v5, v6, v5
	s_or_b32 exec_lo, exec_lo, s73
	s_and_saveexec_b32 s73, s7
	s_cbranch_execz .LBB40_31
.LBB40_63:                              ;   in Loop: Header=BB40_23 Depth=1
	v_mov_b32_e32 v6, s48
	ds_load_b32 v6, v6
	s_wait_dscnt 0x0
	v_add_nc_u32_e32 v5, v6, v5
	s_or_b32 exec_lo, exec_lo, s73
	s_and_saveexec_b32 s73, s8
	s_cbranch_execz .LBB40_32
.LBB40_64:                              ;   in Loop: Header=BB40_23 Depth=1
	v_mov_b32_e32 v6, s49
	ds_load_b32 v6, v6
	s_wait_dscnt 0x0
	v_add_nc_u32_e32 v5, v6, v5
	s_or_b32 exec_lo, exec_lo, s73
	s_and_saveexec_b32 s73, s9
	s_cbranch_execz .LBB40_33
.LBB40_65:                              ;   in Loop: Header=BB40_23 Depth=1
	v_mov_b32_e32 v6, s50
	ds_load_b32 v6, v6
	s_wait_dscnt 0x0
	v_add_nc_u32_e32 v5, v6, v5
	s_or_b32 exec_lo, exec_lo, s73
	s_and_saveexec_b32 s73, s10
	s_cbranch_execz .LBB40_34
.LBB40_66:                              ;   in Loop: Header=BB40_23 Depth=1
	v_mov_b32_e32 v6, s51
	ds_load_b32 v6, v6
	s_wait_dscnt 0x0
	v_add_nc_u32_e32 v5, v6, v5
	s_or_b32 exec_lo, exec_lo, s73
	s_and_saveexec_b32 s73, s11
	s_cbranch_execz .LBB40_35
.LBB40_67:                              ;   in Loop: Header=BB40_23 Depth=1
	v_mov_b32_e32 v6, s52
	ds_load_b32 v6, v6
	s_wait_dscnt 0x0
	v_add_nc_u32_e32 v5, v6, v5
	s_or_b32 exec_lo, exec_lo, s73
	s_and_saveexec_b32 s73, s12
	s_cbranch_execz .LBB40_36
.LBB40_68:                              ;   in Loop: Header=BB40_23 Depth=1
	v_mov_b32_e32 v6, s53
	ds_load_b32 v6, v6
	s_wait_dscnt 0x0
	v_add_nc_u32_e32 v5, v6, v5
	s_or_b32 exec_lo, exec_lo, s73
	s_and_saveexec_b32 s73, s13
	s_cbranch_execz .LBB40_37
.LBB40_69:                              ;   in Loop: Header=BB40_23 Depth=1
	v_mov_b32_e32 v6, s54
	ds_load_b32 v6, v6
	s_wait_dscnt 0x0
	v_add_nc_u32_e32 v5, v6, v5
	s_or_b32 exec_lo, exec_lo, s73
	s_and_saveexec_b32 s73, s14
	s_cbranch_execz .LBB40_38
.LBB40_70:                              ;   in Loop: Header=BB40_23 Depth=1
	v_mov_b32_e32 v6, s55
	ds_load_b32 v6, v6
	s_wait_dscnt 0x0
	v_add_nc_u32_e32 v5, v6, v5
	s_or_b32 exec_lo, exec_lo, s73
	s_and_saveexec_b32 s73, s15
	s_cbranch_execz .LBB40_39
.LBB40_71:                              ;   in Loop: Header=BB40_23 Depth=1
	v_mov_b32_e32 v6, s56
	ds_load_b32 v6, v6
	s_wait_dscnt 0x0
	v_add_nc_u32_e32 v5, v6, v5
	s_or_b32 exec_lo, exec_lo, s73
	s_and_saveexec_b32 s73, s16
	s_cbranch_execz .LBB40_40
.LBB40_72:                              ;   in Loop: Header=BB40_23 Depth=1
	v_mov_b32_e32 v6, s57
	ds_load_b32 v6, v6
	s_wait_dscnt 0x0
	v_add_nc_u32_e32 v5, v6, v5
	s_or_b32 exec_lo, exec_lo, s73
	s_and_saveexec_b32 s73, s17
	s_cbranch_execz .LBB40_41
.LBB40_73:                              ;   in Loop: Header=BB40_23 Depth=1
	v_mov_b32_e32 v6, s58
	ds_load_b32 v6, v6
	s_wait_dscnt 0x0
	v_add_nc_u32_e32 v5, v6, v5
	s_or_b32 exec_lo, exec_lo, s73
	s_and_saveexec_b32 s73, s18
	s_cbranch_execz .LBB40_42
.LBB40_74:                              ;   in Loop: Header=BB40_23 Depth=1
	v_mov_b32_e32 v6, s59
	ds_load_b32 v6, v6
	s_wait_dscnt 0x0
	v_add_nc_u32_e32 v5, v6, v5
	s_or_b32 exec_lo, exec_lo, s73
	s_and_saveexec_b32 s73, s19
	s_cbranch_execz .LBB40_43
.LBB40_75:                              ;   in Loop: Header=BB40_23 Depth=1
	v_mov_b32_e32 v6, s60
	ds_load_b32 v6, v6
	s_wait_dscnt 0x0
	v_add_nc_u32_e32 v5, v6, v5
	s_or_b32 exec_lo, exec_lo, s73
	s_and_saveexec_b32 s73, s20
	s_cbranch_execz .LBB40_44
.LBB40_76:                              ;   in Loop: Header=BB40_23 Depth=1
	v_mov_b32_e32 v6, s61
	ds_load_b32 v6, v6
	s_wait_dscnt 0x0
	v_add_nc_u32_e32 v5, v6, v5
	s_or_b32 exec_lo, exec_lo, s73
	s_and_saveexec_b32 s73, s21
	s_cbranch_execz .LBB40_45
.LBB40_77:                              ;   in Loop: Header=BB40_23 Depth=1
	v_mov_b32_e32 v6, s62
	ds_load_b32 v6, v6
	s_wait_dscnt 0x0
	v_add_nc_u32_e32 v5, v6, v5
	s_or_b32 exec_lo, exec_lo, s73
	s_and_saveexec_b32 s73, s22
	s_cbranch_execz .LBB40_46
.LBB40_78:                              ;   in Loop: Header=BB40_23 Depth=1
	v_mov_b32_e32 v6, s63
	ds_load_b32 v6, v6
	s_wait_dscnt 0x0
	v_add_nc_u32_e32 v5, v6, v5
	s_or_b32 exec_lo, exec_lo, s73
	s_and_saveexec_b32 s73, s23
	s_cbranch_execz .LBB40_47
.LBB40_79:                              ;   in Loop: Header=BB40_23 Depth=1
	v_mov_b32_e32 v6, s64
	ds_load_b32 v6, v6
	s_wait_dscnt 0x0
	v_add_nc_u32_e32 v5, v6, v5
	s_or_b32 exec_lo, exec_lo, s73
	s_and_saveexec_b32 s73, s24
	s_cbranch_execz .LBB40_48
.LBB40_80:                              ;   in Loop: Header=BB40_23 Depth=1
	v_mov_b32_e32 v6, s65
	ds_load_b32 v6, v6
	s_wait_dscnt 0x0
	v_add_nc_u32_e32 v5, v6, v5
	s_or_b32 exec_lo, exec_lo, s73
	s_and_saveexec_b32 s73, s25
	s_cbranch_execz .LBB40_49
.LBB40_81:                              ;   in Loop: Header=BB40_23 Depth=1
	v_mov_b32_e32 v6, s66
	ds_load_b32 v6, v6
	s_wait_dscnt 0x0
	v_add_nc_u32_e32 v5, v6, v5
	s_or_b32 exec_lo, exec_lo, s73
	s_and_saveexec_b32 s73, s26
	s_cbranch_execz .LBB40_50
.LBB40_82:                              ;   in Loop: Header=BB40_23 Depth=1
	v_mov_b32_e32 v6, s67
	ds_load_b32 v6, v6
	s_wait_dscnt 0x0
	v_add_nc_u32_e32 v5, v6, v5
	s_or_b32 exec_lo, exec_lo, s73
	s_and_saveexec_b32 s73, s27
	s_cbranch_execz .LBB40_51
.LBB40_83:                              ;   in Loop: Header=BB40_23 Depth=1
	v_mov_b32_e32 v6, s68
	ds_load_b32 v6, v6
	s_wait_dscnt 0x0
	v_add_nc_u32_e32 v5, v6, v5
	s_or_b32 exec_lo, exec_lo, s73
	s_and_saveexec_b32 s73, s28
	s_cbranch_execz .LBB40_52
.LBB40_84:                              ;   in Loop: Header=BB40_23 Depth=1
	v_mov_b32_e32 v6, s69
	ds_load_b32 v6, v6
	s_wait_dscnt 0x0
	v_add_nc_u32_e32 v5, v6, v5
	s_or_b32 exec_lo, exec_lo, s73
	s_and_saveexec_b32 s73, s29
	s_cbranch_execz .LBB40_53
.LBB40_85:                              ;   in Loop: Header=BB40_23 Depth=1
	v_mov_b32_e32 v6, s70
	ds_load_b32 v6, v6
	s_wait_dscnt 0x0
	v_add_nc_u32_e32 v5, v6, v5
	s_or_b32 exec_lo, exec_lo, s73
	s_and_saveexec_b32 s73, s30
	s_cbranch_execz .LBB40_54
.LBB40_86:                              ;   in Loop: Header=BB40_23 Depth=1
	v_mov_b32_e32 v6, s71
	ds_load_b32 v6, v6
	s_wait_dscnt 0x0
	v_add_nc_u32_e32 v5, v6, v5
	s_or_b32 exec_lo, exec_lo, s73
	s_and_saveexec_b32 s73, s31
	s_cbranch_execz .LBB40_55
.LBB40_87:                              ;   in Loop: Header=BB40_23 Depth=1
	v_lshlrev_b32_e32 v6, 2, v1
	s_delay_alu instid0(VALU_DEP_1) | instskip(NEXT) | instid1(VALU_DEP_1)
	v_dual_lshlrev_b32 v7, 2, v5 :: v_dual_add_nc_u32 v6, 0, v6
	v_add3_u32 v6, v6, v7, -4
	ds_store_b32 v6, v4
	s_or_b32 exec_lo, exec_lo, s73
	s_and_saveexec_b32 s31, vcc_lo
	s_cbranch_execz .LBB40_22
.LBB40_88:                              ;   in Loop: Header=BB40_23 Depth=1
	v_mov_b32_e32 v4, s72
	ds_store_b32 v4, v5
	s_branch .LBB40_22
.LBB40_89:                              ;   in Loop: Header=BB40_90 Depth=1
	s_or_b32 exec_lo, exec_lo, s4
	v_add_nc_u64_e32 v[2:3], 0x400, v[2:3]
	s_delay_alu instid0(VALU_DEP_1) | instskip(SKIP_1) | instid1(SALU_CYCLE_1)
	v_cmp_le_i64_e32 vcc_lo, s[2:3], v[2:3]
	s_or_b32 s1, vcc_lo, s1
	s_and_not1_b32 exec_lo, exec_lo, s1
	s_cbranch_execz .LBB40_20
.LBB40_90:                              ; =>This Loop Header: Depth=1
                                        ;     Child Loop BB40_93 Depth 2
	v_lshl_add_u64 v[4:5], v[2:3], 2, s[10:11]
	s_mov_b32 s4, 0
                                        ; implicit-def: $sgpr5
	global_load_b32 v1, v[4:5], off
	s_wait_loadcnt 0x0
	v_subrev_nc_u32_e32 v1, s43, v1
	s_delay_alu instid0(VALU_DEP_1) | instskip(NEXT) | instid1(VALU_DEP_1)
	v_mul_lo_u32 v4, 0x89, v1
	v_and_b32_e32 v4, 0x3fff, v4
	s_branch .LBB40_93
.LBB40_91:                              ;   in Loop: Header=BB40_93 Depth=2
	s_or_b32 exec_lo, exec_lo, s7
	s_delay_alu instid0(SALU_CYCLE_1) | instskip(SKIP_1) | instid1(SALU_CYCLE_1)
	s_and_not1_b32 s5, s5, exec_lo
	s_and_b32 s7, s8, exec_lo
	s_or_b32 s5, s5, s7
.LBB40_92:                              ;   in Loop: Header=BB40_93 Depth=2
	s_or_b32 exec_lo, exec_lo, s6
	s_xor_b32 s6, s5, -1
	s_delay_alu instid0(SALU_CYCLE_1) | instskip(NEXT) | instid1(SALU_CYCLE_1)
	s_and_b32 s6, exec_lo, s6
	s_or_b32 s4, s6, s4
	s_delay_alu instid0(SALU_CYCLE_1)
	s_and_not1_b32 exec_lo, exec_lo, s4
	s_cbranch_execz .LBB40_89
.LBB40_93:                              ;   Parent Loop BB40_90 Depth=1
                                        ; =>  This Inner Loop Header: Depth=2
	s_delay_alu instid0(VALU_DEP_1)
	v_lshl_add_u32 v5, v4, 2, 0
	s_and_not1_b32 s5, s5, exec_lo
	s_mov_b32 s6, exec_lo
	ds_load_b32 v6, v5
	s_wait_dscnt 0x0
	v_cmpx_ne_u32_e64 v6, v1
	s_cbranch_execz .LBB40_92
; %bb.94:                               ;   in Loop: Header=BB40_93 Depth=2
	s_mov_b32 s7, exec_lo
	v_cmpx_ne_u32_e64 s33, v6
	s_xor_b32 s7, exec_lo, s7
; %bb.95:                               ;   in Loop: Header=BB40_93 Depth=2
	v_add_nc_u32_e32 v4, 1, v4
                                        ; implicit-def: $vgpr5
	s_delay_alu instid0(VALU_DEP_1)
	v_and_b32_e32 v4, 0x3fff, v4
; %bb.96:                               ;   in Loop: Header=BB40_93 Depth=2
	s_or_saveexec_b32 s7, s7
	s_mov_b32 s8, -1
	s_xor_b32 exec_lo, exec_lo, s7
	s_cbranch_execz .LBB40_91
; %bb.97:                               ;   in Loop: Header=BB40_93 Depth=2
	v_mov_b32_e32 v6, s33
	ds_cmpstore_rtn_b32 v5, v5, v1, v6
	s_wait_dscnt 0x0
	v_cmp_ne_u32_e32 vcc_lo, s33, v5
	s_or_not1_b32 s8, vcc_lo, exec_lo
	s_branch .LBB40_91
.LBB40_98:
	s_or_b32 exec_lo, exec_lo, s35
	s_ashr_i32 s35, s34, 31
	s_delay_alu instid0(SALU_CYCLE_1) | instskip(NEXT) | instid1(SALU_CYCLE_1)
	s_lshl_b64 s[0:1], s[34:35], 3
	s_add_nc_u64 s[4:5], s[36:37], s[0:1]
	s_load_b128 s[0:3], s[4:5], 0x0
	s_wait_xcnt 0x0
	s_mov_b32 s4, exec_lo
	s_wait_kmcnt 0x0
	s_sub_co_i32 s3, s2, s0
	s_delay_alu instid0(SALU_CYCLE_1)
	v_cmpx_gt_i32_e64 s3, v0
	s_cbranch_execz .LBB40_108
; %bb.99:
	s_sub_co_i32 s4, s0, s2
	s_and_b32 s2, s3, 7
	s_cmp_lt_u32 s4, -7
	s_mov_b32 s43, 0
	s_cselect_b32 s4, -1, 0
	s_and_b32 s5, s3, -8
	s_cmp_lg_u32 s2, 0
	s_sub_nc_u64 s[0:1], s[0:1], s[42:43]
	s_cselect_b32 s6, -1, 0
	s_mov_b32 s7, 0
	s_branch .LBB40_101
.LBB40_100:                             ;   in Loop: Header=BB40_101 Depth=1
	v_add_nc_u32_e32 v0, 0x400, v0
	s_wait_dscnt 0x0
	v_add_nc_u32_e32 v1, s42, v1
	s_delay_alu instid0(VALU_DEP_3) | instskip(NEXT) | instid1(VALU_DEP_3)
	v_lshl_add_u64 v[2:3], v[2:3], 2, s[38:39]
	v_cmp_le_i32_e32 vcc_lo, s3, v0
	global_store_b32 v[2:3], v1, off
	s_or_b32 s7, vcc_lo, s7
	s_wait_xcnt 0x0
	s_and_not1_b32 exec_lo, exec_lo, s7
	s_cbranch_execz .LBB40_108
.LBB40_101:                             ; =>This Loop Header: Depth=1
                                        ;     Child Loop BB40_103 Depth 2
                                        ;     Child Loop BB40_107 Depth 2
	v_lshl_add_u32 v1, v0, 2, 0
	v_mov_b64_e32 v[2:3], s[0:1]
	s_and_not1_b32 vcc_lo, exec_lo, s4
	s_mov_b32 s8, 0
	ds_load_b32 v1, v1
	s_cbranch_vccnz .LBB40_105
; %bb.102:                              ;   in Loop: Header=BB40_101 Depth=1
	v_mov_b64_e32 v[2:3], s[0:1]
	s_mov_b32 s9, 0
.LBB40_103:                             ;   Parent Loop BB40_101 Depth=1
                                        ; =>  This Inner Loop Header: Depth=2
	s_delay_alu instid0(SALU_CYCLE_1)
	v_dual_mov_b32 v8, s9 :: v_dual_mov_b32 v9, s43
	v_mov_b32_e32 v15, s43
	s_add_co_i32 s8, s8, 8
	s_add_co_i32 s9, s9, 32
	ds_load_2addr_b32 v[4:5], v8 offset1:1
	ds_load_2addr_b32 v[6:7], v8 offset0:2 offset1:3
	ds_load_2addr_b32 v[10:11], v8 offset0:4 offset1:5
	;; [unrolled: 1-line block ×3, first 2 shown]
	s_cmp_eq_u32 s5, s8
	s_wait_dscnt 0x3
	v_cmp_gt_i32_e32 vcc_lo, v1, v4
	v_cndmask_b32_e64 v8, 0, 1, vcc_lo
	v_cmp_gt_i32_e32 vcc_lo, v1, v5
	v_mov_b32_e32 v5, s43
	s_delay_alu instid0(VALU_DEP_3) | instskip(SKIP_4) | instid1(VALU_DEP_3)
	v_add_nc_u64_e32 v[2:3], v[2:3], v[8:9]
	v_cndmask_b32_e64 v14, 0, 1, vcc_lo
	s_wait_dscnt 0x2
	v_cmp_gt_i32_e32 vcc_lo, v1, v6
	v_cndmask_b32_e64 v4, 0, 1, vcc_lo
	v_add_nc_u64_e32 v[2:3], v[2:3], v[14:15]
	v_cmp_gt_i32_e32 vcc_lo, v1, v7
	v_mov_b32_e32 v7, s43
	v_cndmask_b32_e64 v8, 0, 1, vcc_lo
	s_delay_alu instid0(VALU_DEP_4) | instskip(SKIP_3) | instid1(VALU_DEP_3)
	v_add_nc_u64_e32 v[2:3], v[2:3], v[4:5]
	s_wait_dscnt 0x1
	v_cmp_gt_i32_e32 vcc_lo, v1, v10
	v_cndmask_b32_e64 v4, 0, 1, vcc_lo
	v_add_nc_u64_e32 v[2:3], v[2:3], v[8:9]
	v_cmp_gt_i32_e32 vcc_lo, v1, v11
	v_cndmask_b32_e64 v6, 0, 1, vcc_lo
	s_delay_alu instid0(VALU_DEP_3) | instskip(SKIP_3) | instid1(VALU_DEP_3)
	v_add_nc_u64_e32 v[2:3], v[2:3], v[4:5]
	s_wait_dscnt 0x0
	v_cmp_gt_i32_e32 vcc_lo, v1, v12
	v_cndmask_b32_e64 v4, 0, 1, vcc_lo
	v_add_nc_u64_e32 v[2:3], v[2:3], v[6:7]
	v_cmp_gt_i32_e32 vcc_lo, v1, v13
	v_cndmask_b32_e64 v6, 0, 1, vcc_lo
	s_delay_alu instid0(VALU_DEP_3) | instskip(NEXT) | instid1(VALU_DEP_1)
	v_add_nc_u64_e32 v[2:3], v[2:3], v[4:5]
	v_add_nc_u64_e32 v[2:3], v[2:3], v[6:7]
	s_cbranch_scc0 .LBB40_103
; %bb.104:                              ;   in Loop: Header=BB40_101 Depth=1
	s_mov_b32 s8, s5
.LBB40_105:                             ;   in Loop: Header=BB40_101 Depth=1
	s_and_not1_b32 vcc_lo, exec_lo, s6
	s_cbranch_vccnz .LBB40_100
; %bb.106:                              ;   in Loop: Header=BB40_101 Depth=1
	s_lshl_b32 s8, s8, 2
	s_mov_b32 s9, s2
	s_add_co_i32 s8, s8, 0
.LBB40_107:                             ;   Parent Loop BB40_101 Depth=1
                                        ; =>  This Inner Loop Header: Depth=2
	s_delay_alu instid0(SALU_CYCLE_1)
	v_dual_mov_b32 v4, s8 :: v_dual_mov_b32 v5, s43
	s_add_co_i32 s9, s9, -1
	s_add_co_i32 s8, s8, 4
	s_cmp_lg_u32 s9, 0
	ds_load_b32 v4, v4
	s_wait_dscnt 0x0
	v_cmp_gt_i32_e32 vcc_lo, v1, v4
	v_cndmask_b32_e64 v4, 0, 1, vcc_lo
	s_delay_alu instid0(VALU_DEP_1)
	v_add_nc_u64_e32 v[2:3], v[2:3], v[4:5]
	s_cbranch_scc1 .LBB40_107
	s_branch .LBB40_100
.LBB40_108:
	s_endpgm
	.section	.rodata,"a",@progbits
	.p2align	6, 0x0
	.amdhsa_kernel _ZN9rocsparseL35csrgemm_symbolic_fill_block_per_rowILj1024ELj64ELj16384ELj137ELj32EliEEvT5_PKS1_S3_PKT4_S3_S6_S3_S6_S3_S6_PS1_21rocsparse_index_base_S8_S8_S8_bb
		.amdhsa_group_segment_fixed_size 0
		.amdhsa_private_segment_fixed_size 0
		.amdhsa_kernarg_size 108
		.amdhsa_user_sgpr_count 2
		.amdhsa_user_sgpr_dispatch_ptr 0
		.amdhsa_user_sgpr_queue_ptr 0
		.amdhsa_user_sgpr_kernarg_segment_ptr 1
		.amdhsa_user_sgpr_dispatch_id 0
		.amdhsa_user_sgpr_kernarg_preload_length 0
		.amdhsa_user_sgpr_kernarg_preload_offset 0
		.amdhsa_user_sgpr_private_segment_size 0
		.amdhsa_wavefront_size32 1
		.amdhsa_uses_dynamic_stack 0
		.amdhsa_enable_private_segment 0
		.amdhsa_system_sgpr_workgroup_id_x 1
		.amdhsa_system_sgpr_workgroup_id_y 0
		.amdhsa_system_sgpr_workgroup_id_z 0
		.amdhsa_system_sgpr_workgroup_info 0
		.amdhsa_system_vgpr_workitem_id 0
		.amdhsa_next_free_vgpr 16
		.amdhsa_next_free_sgpr 74
		.amdhsa_named_barrier_count 0
		.amdhsa_reserve_vcc 1
		.amdhsa_float_round_mode_32 0
		.amdhsa_float_round_mode_16_64 0
		.amdhsa_float_denorm_mode_32 3
		.amdhsa_float_denorm_mode_16_64 3
		.amdhsa_fp16_overflow 0
		.amdhsa_memory_ordered 1
		.amdhsa_forward_progress 1
		.amdhsa_inst_pref_size 31
		.amdhsa_round_robin_scheduling 0
		.amdhsa_exception_fp_ieee_invalid_op 0
		.amdhsa_exception_fp_denorm_src 0
		.amdhsa_exception_fp_ieee_div_zero 0
		.amdhsa_exception_fp_ieee_overflow 0
		.amdhsa_exception_fp_ieee_underflow 0
		.amdhsa_exception_fp_ieee_inexact 0
		.amdhsa_exception_int_div_zero 0
	.end_amdhsa_kernel
	.section	.text._ZN9rocsparseL35csrgemm_symbolic_fill_block_per_rowILj1024ELj64ELj16384ELj137ELj32EliEEvT5_PKS1_S3_PKT4_S3_S6_S3_S6_S3_S6_PS1_21rocsparse_index_base_S8_S8_S8_bb,"axG",@progbits,_ZN9rocsparseL35csrgemm_symbolic_fill_block_per_rowILj1024ELj64ELj16384ELj137ELj32EliEEvT5_PKS1_S3_PKT4_S3_S6_S3_S6_S3_S6_PS1_21rocsparse_index_base_S8_S8_S8_bb,comdat
.Lfunc_end40:
	.size	_ZN9rocsparseL35csrgemm_symbolic_fill_block_per_rowILj1024ELj64ELj16384ELj137ELj32EliEEvT5_PKS1_S3_PKT4_S3_S6_S3_S6_S3_S6_PS1_21rocsparse_index_base_S8_S8_S8_bb, .Lfunc_end40-_ZN9rocsparseL35csrgemm_symbolic_fill_block_per_rowILj1024ELj64ELj16384ELj137ELj32EliEEvT5_PKS1_S3_PKT4_S3_S6_S3_S6_S3_S6_PS1_21rocsparse_index_base_S8_S8_S8_bb
                                        ; -- End function
	.set _ZN9rocsparseL35csrgemm_symbolic_fill_block_per_rowILj1024ELj64ELj16384ELj137ELj32EliEEvT5_PKS1_S3_PKT4_S3_S6_S3_S6_S3_S6_PS1_21rocsparse_index_base_S8_S8_S8_bb.num_vgpr, 16
	.set _ZN9rocsparseL35csrgemm_symbolic_fill_block_per_rowILj1024ELj64ELj16384ELj137ELj32EliEEvT5_PKS1_S3_PKT4_S3_S6_S3_S6_S3_S6_PS1_21rocsparse_index_base_S8_S8_S8_bb.num_agpr, 0
	.set _ZN9rocsparseL35csrgemm_symbolic_fill_block_per_rowILj1024ELj64ELj16384ELj137ELj32EliEEvT5_PKS1_S3_PKT4_S3_S6_S3_S6_S3_S6_PS1_21rocsparse_index_base_S8_S8_S8_bb.numbered_sgpr, 74
	.set _ZN9rocsparseL35csrgemm_symbolic_fill_block_per_rowILj1024ELj64ELj16384ELj137ELj32EliEEvT5_PKS1_S3_PKT4_S3_S6_S3_S6_S3_S6_PS1_21rocsparse_index_base_S8_S8_S8_bb.num_named_barrier, 0
	.set _ZN9rocsparseL35csrgemm_symbolic_fill_block_per_rowILj1024ELj64ELj16384ELj137ELj32EliEEvT5_PKS1_S3_PKT4_S3_S6_S3_S6_S3_S6_PS1_21rocsparse_index_base_S8_S8_S8_bb.private_seg_size, 0
	.set _ZN9rocsparseL35csrgemm_symbolic_fill_block_per_rowILj1024ELj64ELj16384ELj137ELj32EliEEvT5_PKS1_S3_PKT4_S3_S6_S3_S6_S3_S6_PS1_21rocsparse_index_base_S8_S8_S8_bb.uses_vcc, 1
	.set _ZN9rocsparseL35csrgemm_symbolic_fill_block_per_rowILj1024ELj64ELj16384ELj137ELj32EliEEvT5_PKS1_S3_PKT4_S3_S6_S3_S6_S3_S6_PS1_21rocsparse_index_base_S8_S8_S8_bb.uses_flat_scratch, 0
	.set _ZN9rocsparseL35csrgemm_symbolic_fill_block_per_rowILj1024ELj64ELj16384ELj137ELj32EliEEvT5_PKS1_S3_PKT4_S3_S6_S3_S6_S3_S6_PS1_21rocsparse_index_base_S8_S8_S8_bb.has_dyn_sized_stack, 0
	.set _ZN9rocsparseL35csrgemm_symbolic_fill_block_per_rowILj1024ELj64ELj16384ELj137ELj32EliEEvT5_PKS1_S3_PKT4_S3_S6_S3_S6_S3_S6_PS1_21rocsparse_index_base_S8_S8_S8_bb.has_recursion, 0
	.set _ZN9rocsparseL35csrgemm_symbolic_fill_block_per_rowILj1024ELj64ELj16384ELj137ELj32EliEEvT5_PKS1_S3_PKT4_S3_S6_S3_S6_S3_S6_PS1_21rocsparse_index_base_S8_S8_S8_bb.has_indirect_call, 0
	.section	.AMDGPU.csdata,"",@progbits
; Kernel info:
; codeLenInByte = 3948
; TotalNumSgprs: 76
; NumVgprs: 16
; ScratchSize: 0
; MemoryBound: 0
; FloatMode: 240
; IeeeMode: 1
; LDSByteSize: 0 bytes/workgroup (compile time only)
; SGPRBlocks: 0
; VGPRBlocks: 0
; NumSGPRsForWavesPerEU: 76
; NumVGPRsForWavesPerEU: 16
; NamedBarCnt: 0
; Occupancy: 16
; WaveLimiterHint : 1
; COMPUTE_PGM_RSRC2:SCRATCH_EN: 0
; COMPUTE_PGM_RSRC2:USER_SGPR: 2
; COMPUTE_PGM_RSRC2:TRAP_HANDLER: 0
; COMPUTE_PGM_RSRC2:TGID_X_EN: 1
; COMPUTE_PGM_RSRC2:TGID_Y_EN: 0
; COMPUTE_PGM_RSRC2:TGID_Z_EN: 0
; COMPUTE_PGM_RSRC2:TIDIG_COMP_CNT: 0
	.section	.text._ZN9rocsparseL35csrgemm_symbolic_fill_block_per_rowILj1024ELj64ELj16384ELj137ELj64EliEEvT5_PKS1_S3_PKT4_S3_S6_S3_S6_S3_S6_PS1_21rocsparse_index_base_S8_S8_S8_bb,"axG",@progbits,_ZN9rocsparseL35csrgemm_symbolic_fill_block_per_rowILj1024ELj64ELj16384ELj137ELj64EliEEvT5_PKS1_S3_PKT4_S3_S6_S3_S6_S3_S6_PS1_21rocsparse_index_base_S8_S8_S8_bb,comdat
	.globl	_ZN9rocsparseL35csrgemm_symbolic_fill_block_per_rowILj1024ELj64ELj16384ELj137ELj64EliEEvT5_PKS1_S3_PKT4_S3_S6_S3_S6_S3_S6_PS1_21rocsparse_index_base_S8_S8_S8_bb ; -- Begin function _ZN9rocsparseL35csrgemm_symbolic_fill_block_per_rowILj1024ELj64ELj16384ELj137ELj64EliEEvT5_PKS1_S3_PKT4_S3_S6_S3_S6_S3_S6_PS1_21rocsparse_index_base_S8_S8_S8_bb
	.p2align	8
	.type	_ZN9rocsparseL35csrgemm_symbolic_fill_block_per_rowILj1024ELj64ELj16384ELj137ELj64EliEEvT5_PKS1_S3_PKT4_S3_S6_S3_S6_S3_S6_PS1_21rocsparse_index_base_S8_S8_S8_bb,@function
_ZN9rocsparseL35csrgemm_symbolic_fill_block_per_rowILj1024ELj64ELj16384ELj137ELj64EliEEvT5_PKS1_S3_PKT4_S3_S6_S3_S6_S3_S6_PS1_21rocsparse_index_base_S8_S8_S8_bb: ; @_ZN9rocsparseL35csrgemm_symbolic_fill_block_per_rowILj1024ELj64ELj16384ELj137ELj64EliEEvT5_PKS1_S3_PKT4_S3_S6_S3_S6_S3_S6_PS1_21rocsparse_index_base_S8_S8_S8_bb
; %bb.0:
	s_clause 0x3
	s_load_b32 s30, s[0:1], 0x0
	s_load_b128 s[20:23], s[0:1], 0x48
	s_load_b256 s[4:11], s[0:1], 0x28
	s_load_b256 s[12:19], s[0:1], 0x8
	v_lshl_add_u32 v12, v0, 2, 0
	v_or_b32_e32 v13, 0xfffffc00, v0
	s_mov_b32 s2, 0
	s_delay_alu instid0(VALU_DEP_1)
	v_dual_mov_b32 v1, v12 :: v_dual_mov_b32 v3, v13
	s_wait_kmcnt 0x0
	v_mov_b32_e32 v2, s30
.LBB41_1:                               ; =>This Inner Loop Header: Depth=1
	s_delay_alu instid0(VALU_DEP_2) | instskip(SKIP_4) | instid1(SALU_CYCLE_1)
	v_add_nc_u32_e32 v3, 0x400, v3
	ds_store_b32 v1, v2
	v_add_nc_u32_e32 v1, 0x1000, v1
	v_cmp_lt_u32_e32 vcc_lo, 0x3bff, v3
	s_or_b32 s2, vcc_lo, s2
	s_and_not1_b32 exec_lo, exec_lo, s2
	s_cbranch_execnz .LBB41_1
; %bb.2:
	s_or_b32 exec_lo, exec_lo, s2
	s_load_b32 s31, s[0:1], 0x68
	s_wait_dscnt 0x0
	s_barrier_signal -1
	s_barrier_wait -1
	s_load_b32 s2, s[12:13], 0x0
	s_getreg_b32 s24, hwreg(HW_REG_IB_STS2, 6, 4)
	v_lshrrev_b32_e32 v2, 6, v0
	s_wait_kmcnt 0x0
	s_bitcmp1_b32 s31, 0
	s_cselect_b32 s3, -1, 0
	s_bfe_u32 s12, ttmp6, 0x4000c
	s_and_b32 s13, ttmp6, 15
	s_add_co_i32 s12, s12, 1
	s_delay_alu instid0(SALU_CYCLE_1) | instskip(NEXT) | instid1(SALU_CYCLE_1)
	s_mul_i32 s12, ttmp9, s12
	s_add_co_i32 s13, s13, s12
	s_cmp_eq_u32 s24, 0
	s_cselect_b32 s12, ttmp9, s13
	s_and_b32 vcc_lo, exec_lo, s3
	s_add_co_i32 s2, s2, s12
	s_load_b128 s[24:27], s[0:1], 0x58
	s_load_b32 s28, s[14:15], s2 offset:0x0 scale_offset
	s_wait_xcnt 0x0
	s_mov_b32 s1, 0
	s_cbranch_vccz .LBB41_18
; %bb.3:
	s_wait_kmcnt 0x0
	s_ashr_i32 s29, s28, 31
	v_mov_b32_e32 v3, 0
	s_lshl_b64 s[2:3], s[28:29], 3
	s_mov_b32 s0, s24
	s_add_nc_u64 s[2:3], s[16:17], s[2:3]
	s_delay_alu instid0(VALU_DEP_1) | instskip(SKIP_2) | instid1(VALU_DEP_1)
	v_sub_nc_u64_e64 v[4:5], v[2:3], s[0:1]
	s_load_b128 s[12:15], s[2:3], 0x0
	s_wait_kmcnt 0x0
	v_add_nc_u64_e32 v[4:5], s[12:13], v[4:5]
	s_sub_nc_u64 s[0:1], s[14:15], s[0:1]
	s_mov_b32 s12, exec_lo
	s_delay_alu instid0(VALU_DEP_1)
	v_cmpx_gt_i64_e64 s[0:1], v[4:5]
	s_cbranch_execz .LBB41_17
; %bb.4:
	v_dual_mov_b32 v7, v3 :: v_dual_bitop2_b32 v6, 63, v0 bitop3:0x40
	s_mov_b32 s3, 0
	s_mov_b32 s2, s25
	;; [unrolled: 1-line block ×3, first 2 shown]
	s_delay_alu instid0(VALU_DEP_1)
	v_sub_nc_u64_e64 v[6:7], v[6:7], s[2:3]
	s_branch .LBB41_6
.LBB41_5:                               ;   in Loop: Header=BB41_6 Depth=1
	s_or_b32 exec_lo, exec_lo, s14
	v_add_nc_u64_e32 v[4:5], 16, v[4:5]
	s_delay_alu instid0(VALU_DEP_1) | instskip(SKIP_1) | instid1(SALU_CYCLE_1)
	v_cmp_le_i64_e32 vcc_lo, s[0:1], v[4:5]
	s_or_b32 s13, vcc_lo, s13
	s_and_not1_b32 exec_lo, exec_lo, s13
	s_cbranch_execz .LBB41_17
.LBB41_6:                               ; =>This Loop Header: Depth=1
                                        ;     Child Loop BB41_9 Depth 2
                                        ;       Child Loop BB41_12 Depth 3
	v_lshl_add_u64 v[8:9], v[4:5], 2, s[18:19]
	s_mov_b32 s14, exec_lo
	global_load_b32 v1, v[8:9], off
	s_wait_loadcnt 0x0
	v_subrev_nc_u32_e32 v8, s24, v1
	s_delay_alu instid0(VALU_DEP_1) | instskip(NEXT) | instid1(VALU_DEP_1)
	v_ashrrev_i32_e32 v9, 31, v8
	v_lshl_add_u64 v[8:9], v[8:9], 3, s[4:5]
	global_load_b128 v[14:17], v[8:9], off
	s_wait_loadcnt 0x0
	v_sub_nc_u64_e64 v[8:9], v[16:17], s[2:3]
	v_add_nc_u64_e32 v[10:11], v[14:15], v[6:7]
	s_delay_alu instid0(VALU_DEP_1)
	v_cmpx_lt_i64_e64 v[10:11], v[8:9]
	s_cbranch_execz .LBB41_5
; %bb.7:                                ;   in Loop: Header=BB41_6 Depth=1
	s_mov_b32 s15, 0
	s_branch .LBB41_9
.LBB41_8:                               ;   in Loop: Header=BB41_9 Depth=2
	s_or_b32 exec_lo, exec_lo, s16
	v_add_nc_u64_e32 v[10:11], 64, v[10:11]
	s_delay_alu instid0(VALU_DEP_1) | instskip(SKIP_1) | instid1(SALU_CYCLE_1)
	v_cmp_ge_i64_e32 vcc_lo, v[10:11], v[8:9]
	s_or_b32 s15, vcc_lo, s15
	s_and_not1_b32 exec_lo, exec_lo, s15
	s_cbranch_execz .LBB41_5
.LBB41_9:                               ;   Parent Loop BB41_6 Depth=1
                                        ; =>  This Loop Header: Depth=2
                                        ;       Child Loop BB41_12 Depth 3
	v_lshl_add_u64 v[14:15], v[10:11], 2, s[6:7]
	s_mov_b32 s16, 0
                                        ; implicit-def: $sgpr17
	global_load_b32 v1, v[14:15], off
	s_wait_loadcnt 0x0
	v_subrev_nc_u32_e32 v1, s25, v1
	s_delay_alu instid0(VALU_DEP_1) | instskip(NEXT) | instid1(VALU_DEP_1)
	v_mul_lo_u32 v3, 0x89, v1
	v_and_b32_e32 v3, 0x3fff, v3
	s_branch .LBB41_12
.LBB41_10:                              ;   in Loop: Header=BB41_12 Depth=3
	s_or_b32 exec_lo, exec_lo, s33
	s_delay_alu instid0(SALU_CYCLE_1) | instskip(SKIP_1) | instid1(SALU_CYCLE_1)
	s_and_not1_b32 s17, s17, exec_lo
	s_and_b32 s33, s34, exec_lo
	s_or_b32 s17, s17, s33
.LBB41_11:                              ;   in Loop: Header=BB41_12 Depth=3
	s_or_b32 exec_lo, exec_lo, s29
	s_xor_b32 s29, s17, -1
	s_delay_alu instid0(SALU_CYCLE_1) | instskip(NEXT) | instid1(SALU_CYCLE_1)
	s_and_b32 s29, exec_lo, s29
	s_or_b32 s16, s29, s16
	s_delay_alu instid0(SALU_CYCLE_1)
	s_and_not1_b32 exec_lo, exec_lo, s16
	s_cbranch_execz .LBB41_8
.LBB41_12:                              ;   Parent Loop BB41_6 Depth=1
                                        ;     Parent Loop BB41_9 Depth=2
                                        ; =>    This Inner Loop Header: Depth=3
	s_delay_alu instid0(VALU_DEP_1)
	v_lshl_add_u32 v14, v3, 2, 0
	s_and_not1_b32 s17, s17, exec_lo
	s_mov_b32 s29, exec_lo
	ds_load_b32 v15, v14
	s_wait_dscnt 0x0
	v_cmpx_ne_u32_e64 v15, v1
	s_cbranch_execz .LBB41_11
; %bb.13:                               ;   in Loop: Header=BB41_12 Depth=3
	s_mov_b32 s33, exec_lo
	v_cmpx_ne_u32_e64 s30, v15
	s_xor_b32 s33, exec_lo, s33
; %bb.14:                               ;   in Loop: Header=BB41_12 Depth=3
	v_add_nc_u32_e32 v3, 1, v3
                                        ; implicit-def: $vgpr14
	s_delay_alu instid0(VALU_DEP_1)
	v_and_b32_e32 v3, 0x3fff, v3
; %bb.15:                               ;   in Loop: Header=BB41_12 Depth=3
	s_or_saveexec_b32 s33, s33
	s_mov_b32 s34, -1
	s_xor_b32 exec_lo, exec_lo, s33
	s_cbranch_execz .LBB41_10
; %bb.16:                               ;   in Loop: Header=BB41_12 Depth=3
	v_mov_b32_e32 v15, s30
	ds_cmpstore_rtn_b32 v14, v14, v1, v15
	s_wait_dscnt 0x0
	v_cmp_ne_u32_e32 vcc_lo, s30, v14
	s_or_not1_b32 s34, vcc_lo, exec_lo
	s_branch .LBB41_10
.LBB41_17:
	s_or_b32 exec_lo, exec_lo, s12
.LBB41_18:
	s_bfe_u32 s0, s31, 0x10008
	s_delay_alu instid0(SALU_CYCLE_1)
	s_cmp_eq_u32 s0, 0
	s_cbranch_scc1 .LBB41_21
; %bb.19:
	s_wait_kmcnt 0x0
	s_ashr_i32 s29, s28, 31
	v_mov_b32_e32 v1, 0
	s_lshl_b64 s[0:1], s[28:29], 3
	s_delay_alu instid0(SALU_CYCLE_1) | instskip(SKIP_4) | instid1(SALU_CYCLE_1)
	s_add_nc_u64 s[0:1], s[8:9], s[0:1]
	s_load_b128 s[4:7], s[0:1], 0x0
	s_wait_xcnt 0x0
	s_mov_b32 s1, 0
	s_mov_b32 s0, s27
	v_sub_nc_u64_e64 v[4:5], v[0:1], s[0:1]
	s_wait_kmcnt 0x0
	s_delay_alu instid0(VALU_DEP_1) | instskip(SKIP_2) | instid1(VALU_DEP_1)
	v_add_nc_u64_e32 v[4:5], s[4:5], v[4:5]
	s_sub_nc_u64 s[2:3], s[6:7], s[0:1]
	s_mov_b32 s0, exec_lo
	v_cmpx_gt_i64_e64 s[2:3], v[4:5]
	s_cbranch_execnz .LBB41_58
.LBB41_20:
	s_or_b32 exec_lo, exec_lo, s0
.LBB41_21:
	v_mbcnt_lo_u32_b32 v1, -1, 0
	v_lshlrev_b32_e32 v2, 2, v2
	s_add_co_i32 s36, 0, 0x1003c
	v_cmp_lt_u32_e64 s0, 63, v0
	v_cmp_lt_u32_e64 s1, 0x7f, v0
	v_dual_mov_b32 v1, 0 :: v_dual_bitop2_b32 v4, 31, v1 bitop3:0x14
	v_add3_u32 v3, 0x10000, 0, v2
	v_cmp_lt_u32_e64 s2, 0xbf, v0
	v_cmp_lt_u32_e64 s3, 0xff, v0
	s_delay_alu instid0(VALU_DEP_4)
	v_lshrrev_b32_e64 v2, v4, -1
	v_cmp_lt_u32_e64 s4, 0x13f, v0
	v_cmp_lt_u32_e64 s5, 0x17f, v0
	;; [unrolled: 1-line block ×11, first 2 shown]
	v_mov_b32_e32 v4, s36
	s_mov_b32 s16, 0
	s_add_co_i32 s17, 0, 0x10000
	s_add_co_i32 s18, 0, 0x10004
	;; [unrolled: 1-line block ×3, first 2 shown]
	s_wait_kmcnt 0x0
	s_add_co_i32 s24, 0, 0x1000c
	s_add_co_i32 s25, 0, 0x10010
	s_add_co_i32 s27, 0, 0x10014
	s_add_co_i32 s29, 0, 0x10018
	s_add_co_i32 s31, 0, 0x1001c
	s_add_co_i32 s33, 0, 0x10020
	s_add_co_i32 s34, 0, 0x10024
	s_add_co_i32 s35, 0, 0x10028
	s_add_co_i32 s37, 0, 0x1002c
	s_add_co_i32 s38, 0, 0x10030
	s_add_co_i32 s39, 0, 0x10034
	s_add_co_i32 s40, 0, 0x10038
	s_barrier_signal -1
	s_barrier_wait -1
	v_cmp_eq_u32_e32 vcc_lo, 0x3ff, v0
	s_branch .LBB41_23
.LBB41_22:                              ;   in Loop: Header=BB41_23 Depth=1
	s_or_b32 exec_lo, exec_lo, s15
	s_wait_dscnt 0x0
	s_barrier_signal -1
	s_barrier_wait -1
	ds_load_b32 v5, v4
	v_add_nc_u32_e32 v13, 0x400, v13
	v_add_nc_u32_e32 v12, 0x1000, v12
	s_delay_alu instid0(VALU_DEP_2)
	v_cmp_lt_u32_e64 s15, 0x3bff, v13
	s_or_b32 s16, s15, s16
	s_wait_dscnt 0x0
	v_add_nc_u32_e32 v1, v5, v1
	s_and_not1_b32 exec_lo, exec_lo, s16
	s_cbranch_execz .LBB41_66
.LBB41_23:                              ; =>This Inner Loop Header: Depth=1
	ds_load_b32 v5, v12
	s_wait_dscnt 0x0
	s_barrier_signal -1
	s_barrier_wait -1
	v_cmp_gt_i32_e64 s15, s30, v5
	s_bcnt1_i32_b32 s41, s15
	s_delay_alu instid0(SALU_CYCLE_1) | instskip(NEXT) | instid1(VALU_DEP_1)
	v_dual_mov_b32 v7, s41 :: v_dual_bitop2_b32 v6, s15, v2 bitop3:0x40
	v_bcnt_u32_b32 v6, v6, 0
	ds_store_b32 v3, v7
	s_wait_dscnt 0x0
	s_barrier_signal -1
	s_barrier_wait -1
	s_and_saveexec_b32 s41, s0
	s_cbranch_execnz .LBB41_40
; %bb.24:                               ;   in Loop: Header=BB41_23 Depth=1
	s_or_b32 exec_lo, exec_lo, s41
	s_and_saveexec_b32 s41, s1
	s_cbranch_execnz .LBB41_41
.LBB41_25:                              ;   in Loop: Header=BB41_23 Depth=1
	s_or_b32 exec_lo, exec_lo, s41
	s_and_saveexec_b32 s41, s2
	s_cbranch_execnz .LBB41_42
.LBB41_26:                              ;   in Loop: Header=BB41_23 Depth=1
	s_or_b32 exec_lo, exec_lo, s41
	s_and_saveexec_b32 s41, s3
	s_cbranch_execnz .LBB41_43
.LBB41_27:                              ;   in Loop: Header=BB41_23 Depth=1
	s_or_b32 exec_lo, exec_lo, s41
	s_and_saveexec_b32 s41, s4
	s_cbranch_execnz .LBB41_44
.LBB41_28:                              ;   in Loop: Header=BB41_23 Depth=1
	s_or_b32 exec_lo, exec_lo, s41
	s_and_saveexec_b32 s41, s5
	s_cbranch_execnz .LBB41_45
.LBB41_29:                              ;   in Loop: Header=BB41_23 Depth=1
	s_or_b32 exec_lo, exec_lo, s41
	s_and_saveexec_b32 s41, s6
	s_cbranch_execnz .LBB41_46
.LBB41_30:                              ;   in Loop: Header=BB41_23 Depth=1
	s_or_b32 exec_lo, exec_lo, s41
	s_and_saveexec_b32 s41, s7
	s_cbranch_execnz .LBB41_47
.LBB41_31:                              ;   in Loop: Header=BB41_23 Depth=1
	s_or_b32 exec_lo, exec_lo, s41
	s_and_saveexec_b32 s41, s8
	s_cbranch_execnz .LBB41_48
.LBB41_32:                              ;   in Loop: Header=BB41_23 Depth=1
	s_or_b32 exec_lo, exec_lo, s41
	s_and_saveexec_b32 s41, s9
	s_cbranch_execnz .LBB41_49
.LBB41_33:                              ;   in Loop: Header=BB41_23 Depth=1
	s_or_b32 exec_lo, exec_lo, s41
	s_and_saveexec_b32 s41, s10
	s_cbranch_execnz .LBB41_50
.LBB41_34:                              ;   in Loop: Header=BB41_23 Depth=1
	s_or_b32 exec_lo, exec_lo, s41
	s_and_saveexec_b32 s41, s11
	s_cbranch_execnz .LBB41_51
.LBB41_35:                              ;   in Loop: Header=BB41_23 Depth=1
	s_or_b32 exec_lo, exec_lo, s41
	s_and_saveexec_b32 s41, s12
	s_cbranch_execnz .LBB41_52
.LBB41_36:                              ;   in Loop: Header=BB41_23 Depth=1
	s_or_b32 exec_lo, exec_lo, s41
	s_and_saveexec_b32 s41, s13
	s_cbranch_execnz .LBB41_53
.LBB41_37:                              ;   in Loop: Header=BB41_23 Depth=1
	s_or_b32 exec_lo, exec_lo, s41
	s_and_saveexec_b32 s41, s14
	s_cbranch_execnz .LBB41_54
.LBB41_38:                              ;   in Loop: Header=BB41_23 Depth=1
	s_or_b32 exec_lo, exec_lo, s41
	s_and_saveexec_b32 s41, s15
	s_cbranch_execnz .LBB41_55
.LBB41_39:                              ;   in Loop: Header=BB41_23 Depth=1
	s_or_b32 exec_lo, exec_lo, s41
	s_and_saveexec_b32 s15, vcc_lo
	s_cbranch_execz .LBB41_22
	s_branch .LBB41_56
.LBB41_40:                              ;   in Loop: Header=BB41_23 Depth=1
	v_mov_b32_e32 v7, s17
	ds_load_b32 v7, v7
	s_wait_dscnt 0x0
	v_add_nc_u32_e32 v6, v7, v6
	s_or_b32 exec_lo, exec_lo, s41
	s_and_saveexec_b32 s41, s1
	s_cbranch_execz .LBB41_25
.LBB41_41:                              ;   in Loop: Header=BB41_23 Depth=1
	v_mov_b32_e32 v7, s18
	ds_load_b32 v7, v7
	s_wait_dscnt 0x0
	v_add_nc_u32_e32 v6, v7, v6
	s_or_b32 exec_lo, exec_lo, s41
	s_and_saveexec_b32 s41, s2
	s_cbranch_execz .LBB41_26
.LBB41_42:                              ;   in Loop: Header=BB41_23 Depth=1
	v_mov_b32_e32 v7, s19
	ds_load_b32 v7, v7
	s_wait_dscnt 0x0
	v_add_nc_u32_e32 v6, v7, v6
	s_or_b32 exec_lo, exec_lo, s41
	s_and_saveexec_b32 s41, s3
	s_cbranch_execz .LBB41_27
.LBB41_43:                              ;   in Loop: Header=BB41_23 Depth=1
	v_mov_b32_e32 v7, s24
	ds_load_b32 v7, v7
	s_wait_dscnt 0x0
	v_add_nc_u32_e32 v6, v7, v6
	s_or_b32 exec_lo, exec_lo, s41
	s_and_saveexec_b32 s41, s4
	s_cbranch_execz .LBB41_28
.LBB41_44:                              ;   in Loop: Header=BB41_23 Depth=1
	v_mov_b32_e32 v7, s25
	ds_load_b32 v7, v7
	s_wait_dscnt 0x0
	v_add_nc_u32_e32 v6, v7, v6
	s_or_b32 exec_lo, exec_lo, s41
	s_and_saveexec_b32 s41, s5
	s_cbranch_execz .LBB41_29
.LBB41_45:                              ;   in Loop: Header=BB41_23 Depth=1
	v_mov_b32_e32 v7, s27
	ds_load_b32 v7, v7
	s_wait_dscnt 0x0
	v_add_nc_u32_e32 v6, v7, v6
	s_or_b32 exec_lo, exec_lo, s41
	s_and_saveexec_b32 s41, s6
	s_cbranch_execz .LBB41_30
.LBB41_46:                              ;   in Loop: Header=BB41_23 Depth=1
	v_mov_b32_e32 v7, s29
	ds_load_b32 v7, v7
	s_wait_dscnt 0x0
	v_add_nc_u32_e32 v6, v7, v6
	s_or_b32 exec_lo, exec_lo, s41
	s_and_saveexec_b32 s41, s7
	s_cbranch_execz .LBB41_31
.LBB41_47:                              ;   in Loop: Header=BB41_23 Depth=1
	v_mov_b32_e32 v7, s31
	ds_load_b32 v7, v7
	s_wait_dscnt 0x0
	v_add_nc_u32_e32 v6, v7, v6
	s_or_b32 exec_lo, exec_lo, s41
	s_and_saveexec_b32 s41, s8
	s_cbranch_execz .LBB41_32
.LBB41_48:                              ;   in Loop: Header=BB41_23 Depth=1
	v_mov_b32_e32 v7, s33
	ds_load_b32 v7, v7
	s_wait_dscnt 0x0
	v_add_nc_u32_e32 v6, v7, v6
	s_or_b32 exec_lo, exec_lo, s41
	s_and_saveexec_b32 s41, s9
	s_cbranch_execz .LBB41_33
.LBB41_49:                              ;   in Loop: Header=BB41_23 Depth=1
	v_mov_b32_e32 v7, s34
	ds_load_b32 v7, v7
	s_wait_dscnt 0x0
	v_add_nc_u32_e32 v6, v7, v6
	s_or_b32 exec_lo, exec_lo, s41
	s_and_saveexec_b32 s41, s10
	s_cbranch_execz .LBB41_34
.LBB41_50:                              ;   in Loop: Header=BB41_23 Depth=1
	v_mov_b32_e32 v7, s35
	ds_load_b32 v7, v7
	s_wait_dscnt 0x0
	v_add_nc_u32_e32 v6, v7, v6
	s_or_b32 exec_lo, exec_lo, s41
	s_and_saveexec_b32 s41, s11
	s_cbranch_execz .LBB41_35
.LBB41_51:                              ;   in Loop: Header=BB41_23 Depth=1
	v_mov_b32_e32 v7, s37
	ds_load_b32 v7, v7
	s_wait_dscnt 0x0
	v_add_nc_u32_e32 v6, v7, v6
	s_or_b32 exec_lo, exec_lo, s41
	s_and_saveexec_b32 s41, s12
	s_cbranch_execz .LBB41_36
.LBB41_52:                              ;   in Loop: Header=BB41_23 Depth=1
	v_mov_b32_e32 v7, s38
	ds_load_b32 v7, v7
	s_wait_dscnt 0x0
	v_add_nc_u32_e32 v6, v7, v6
	s_or_b32 exec_lo, exec_lo, s41
	s_and_saveexec_b32 s41, s13
	s_cbranch_execz .LBB41_37
.LBB41_53:                              ;   in Loop: Header=BB41_23 Depth=1
	v_mov_b32_e32 v7, s39
	ds_load_b32 v7, v7
	s_wait_dscnt 0x0
	v_add_nc_u32_e32 v6, v7, v6
	s_or_b32 exec_lo, exec_lo, s41
	s_and_saveexec_b32 s41, s14
	s_cbranch_execz .LBB41_38
.LBB41_54:                              ;   in Loop: Header=BB41_23 Depth=1
	v_mov_b32_e32 v7, s40
	ds_load_b32 v7, v7
	s_wait_dscnt 0x0
	v_add_nc_u32_e32 v6, v7, v6
	s_or_b32 exec_lo, exec_lo, s41
	s_and_saveexec_b32 s41, s15
	s_cbranch_execz .LBB41_39
.LBB41_55:                              ;   in Loop: Header=BB41_23 Depth=1
	s_delay_alu instid0(VALU_DEP_1) | instskip(NEXT) | instid1(VALU_DEP_1)
	v_dual_lshlrev_b32 v7, 2, v1 :: v_dual_lshlrev_b32 v8, 2, v6
	v_add_nc_u32_e32 v7, 0, v7
	s_delay_alu instid0(VALU_DEP_1)
	v_add3_u32 v7, v7, v8, -4
	ds_store_b32 v7, v5
	s_or_b32 exec_lo, exec_lo, s41
	s_and_saveexec_b32 s15, vcc_lo
	s_cbranch_execz .LBB41_22
.LBB41_56:                              ;   in Loop: Header=BB41_23 Depth=1
	v_mov_b32_e32 v5, s36
	ds_store_b32 v5, v6
	s_branch .LBB41_22
.LBB41_57:                              ;   in Loop: Header=BB41_58 Depth=1
	s_or_b32 exec_lo, exec_lo, s4
	v_add_nc_u64_e32 v[4:5], 0x400, v[4:5]
	s_delay_alu instid0(VALU_DEP_1) | instskip(SKIP_1) | instid1(SALU_CYCLE_1)
	v_cmp_le_i64_e32 vcc_lo, s[2:3], v[4:5]
	s_or_b32 s1, vcc_lo, s1
	s_and_not1_b32 exec_lo, exec_lo, s1
	s_cbranch_execz .LBB41_20
.LBB41_58:                              ; =>This Loop Header: Depth=1
                                        ;     Child Loop BB41_61 Depth 2
	v_lshl_add_u64 v[6:7], v[4:5], 2, s[10:11]
	s_mov_b32 s4, 0
                                        ; implicit-def: $sgpr5
	global_load_b32 v1, v[6:7], off
	s_wait_loadcnt 0x0
	v_subrev_nc_u32_e32 v1, s27, v1
	s_delay_alu instid0(VALU_DEP_1) | instskip(NEXT) | instid1(VALU_DEP_1)
	v_mul_lo_u32 v3, 0x89, v1
	v_and_b32_e32 v3, 0x3fff, v3
	s_branch .LBB41_61
.LBB41_59:                              ;   in Loop: Header=BB41_61 Depth=2
	s_or_b32 exec_lo, exec_lo, s7
	s_delay_alu instid0(SALU_CYCLE_1) | instskip(SKIP_1) | instid1(SALU_CYCLE_1)
	s_and_not1_b32 s5, s5, exec_lo
	s_and_b32 s7, s8, exec_lo
	s_or_b32 s5, s5, s7
.LBB41_60:                              ;   in Loop: Header=BB41_61 Depth=2
	s_or_b32 exec_lo, exec_lo, s6
	s_xor_b32 s6, s5, -1
	s_delay_alu instid0(SALU_CYCLE_1) | instskip(NEXT) | instid1(SALU_CYCLE_1)
	s_and_b32 s6, exec_lo, s6
	s_or_b32 s4, s6, s4
	s_delay_alu instid0(SALU_CYCLE_1)
	s_and_not1_b32 exec_lo, exec_lo, s4
	s_cbranch_execz .LBB41_57
.LBB41_61:                              ;   Parent Loop BB41_58 Depth=1
                                        ; =>  This Inner Loop Header: Depth=2
	s_delay_alu instid0(VALU_DEP_1)
	v_lshl_add_u32 v6, v3, 2, 0
	s_and_not1_b32 s5, s5, exec_lo
	s_mov_b32 s6, exec_lo
	ds_load_b32 v7, v6
	s_wait_dscnt 0x0
	v_cmpx_ne_u32_e64 v7, v1
	s_cbranch_execz .LBB41_60
; %bb.62:                               ;   in Loop: Header=BB41_61 Depth=2
	s_mov_b32 s7, exec_lo
	v_cmpx_ne_u32_e64 s30, v7
	s_xor_b32 s7, exec_lo, s7
; %bb.63:                               ;   in Loop: Header=BB41_61 Depth=2
	v_add_nc_u32_e32 v3, 1, v3
                                        ; implicit-def: $vgpr6
	s_delay_alu instid0(VALU_DEP_1)
	v_and_b32_e32 v3, 0x3fff, v3
; %bb.64:                               ;   in Loop: Header=BB41_61 Depth=2
	s_or_saveexec_b32 s7, s7
	s_mov_b32 s8, -1
	s_xor_b32 exec_lo, exec_lo, s7
	s_cbranch_execz .LBB41_59
; %bb.65:                               ;   in Loop: Header=BB41_61 Depth=2
	v_mov_b32_e32 v7, s30
	ds_cmpstore_rtn_b32 v6, v6, v1, v7
	s_wait_dscnt 0x0
	v_cmp_ne_u32_e32 vcc_lo, s30, v6
	s_or_not1_b32 s8, vcc_lo, exec_lo
	s_branch .LBB41_59
.LBB41_66:
	s_or_b32 exec_lo, exec_lo, s16
	s_ashr_i32 s29, s28, 31
	s_delay_alu instid0(SALU_CYCLE_1) | instskip(NEXT) | instid1(SALU_CYCLE_1)
	s_lshl_b64 s[0:1], s[28:29], 3
	s_add_nc_u64 s[4:5], s[20:21], s[0:1]
	s_load_b128 s[0:3], s[4:5], 0x0
	s_wait_xcnt 0x0
	s_mov_b32 s4, exec_lo
	s_wait_kmcnt 0x0
	s_sub_co_i32 s3, s2, s0
	s_delay_alu instid0(SALU_CYCLE_1)
	v_cmpx_gt_i32_e64 s3, v0
	s_cbranch_execz .LBB41_76
; %bb.67:
	s_sub_co_i32 s4, s0, s2
	s_and_b32 s2, s3, 7
	s_cmp_lt_u32 s4, -7
	s_mov_b32 s27, 0
	s_cselect_b32 s4, -1, 0
	s_and_b32 s5, s3, -8
	s_cmp_lg_u32 s2, 0
	s_sub_nc_u64 s[0:1], s[0:1], s[26:27]
	s_cselect_b32 s6, -1, 0
	s_mov_b32 s7, 0
	s_branch .LBB41_69
.LBB41_68:                              ;   in Loop: Header=BB41_69 Depth=1
	v_add_nc_u32_e32 v0, 0x400, v0
	s_wait_dscnt 0x0
	v_add_nc_u32_e32 v1, s26, v1
	s_delay_alu instid0(VALU_DEP_3) | instskip(NEXT) | instid1(VALU_DEP_3)
	v_lshl_add_u64 v[2:3], v[2:3], 2, s[22:23]
	v_cmp_le_i32_e32 vcc_lo, s3, v0
	global_store_b32 v[2:3], v1, off
	s_or_b32 s7, vcc_lo, s7
	s_wait_xcnt 0x0
	s_and_not1_b32 exec_lo, exec_lo, s7
	s_cbranch_execz .LBB41_76
.LBB41_69:                              ; =>This Loop Header: Depth=1
                                        ;     Child Loop BB41_71 Depth 2
                                        ;     Child Loop BB41_75 Depth 2
	v_lshl_add_u32 v1, v0, 2, 0
	v_mov_b64_e32 v[2:3], s[0:1]
	s_and_not1_b32 vcc_lo, exec_lo, s4
	s_mov_b32 s8, 0
	ds_load_b32 v1, v1
	s_cbranch_vccnz .LBB41_73
; %bb.70:                               ;   in Loop: Header=BB41_69 Depth=1
	v_mov_b64_e32 v[2:3], s[0:1]
	s_mov_b32 s9, 0
.LBB41_71:                              ;   Parent Loop BB41_69 Depth=1
                                        ; =>  This Inner Loop Header: Depth=2
	s_delay_alu instid0(SALU_CYCLE_1)
	v_dual_mov_b32 v8, s9 :: v_dual_mov_b32 v9, s27
	v_mov_b32_e32 v15, s27
	s_add_co_i32 s8, s8, 8
	s_add_co_i32 s9, s9, 32
	ds_load_2addr_b32 v[4:5], v8 offset1:1
	ds_load_2addr_b32 v[6:7], v8 offset0:2 offset1:3
	ds_load_2addr_b32 v[10:11], v8 offset0:4 offset1:5
	;; [unrolled: 1-line block ×3, first 2 shown]
	s_cmp_eq_u32 s5, s8
	s_wait_dscnt 0x3
	v_cmp_gt_i32_e32 vcc_lo, v1, v4
	v_cndmask_b32_e64 v8, 0, 1, vcc_lo
	v_cmp_gt_i32_e32 vcc_lo, v1, v5
	v_mov_b32_e32 v5, s27
	s_delay_alu instid0(VALU_DEP_3) | instskip(SKIP_4) | instid1(VALU_DEP_3)
	v_add_nc_u64_e32 v[2:3], v[2:3], v[8:9]
	v_cndmask_b32_e64 v14, 0, 1, vcc_lo
	s_wait_dscnt 0x2
	v_cmp_gt_i32_e32 vcc_lo, v1, v6
	v_cndmask_b32_e64 v4, 0, 1, vcc_lo
	v_add_nc_u64_e32 v[2:3], v[2:3], v[14:15]
	v_cmp_gt_i32_e32 vcc_lo, v1, v7
	v_mov_b32_e32 v7, s27
	v_cndmask_b32_e64 v8, 0, 1, vcc_lo
	s_delay_alu instid0(VALU_DEP_4) | instskip(SKIP_3) | instid1(VALU_DEP_3)
	v_add_nc_u64_e32 v[2:3], v[2:3], v[4:5]
	s_wait_dscnt 0x1
	v_cmp_gt_i32_e32 vcc_lo, v1, v10
	v_cndmask_b32_e64 v4, 0, 1, vcc_lo
	v_add_nc_u64_e32 v[2:3], v[2:3], v[8:9]
	v_cmp_gt_i32_e32 vcc_lo, v1, v11
	v_cndmask_b32_e64 v6, 0, 1, vcc_lo
	s_delay_alu instid0(VALU_DEP_3) | instskip(SKIP_3) | instid1(VALU_DEP_3)
	v_add_nc_u64_e32 v[2:3], v[2:3], v[4:5]
	s_wait_dscnt 0x0
	v_cmp_gt_i32_e32 vcc_lo, v1, v12
	v_cndmask_b32_e64 v4, 0, 1, vcc_lo
	v_add_nc_u64_e32 v[2:3], v[2:3], v[6:7]
	v_cmp_gt_i32_e32 vcc_lo, v1, v13
	v_cndmask_b32_e64 v6, 0, 1, vcc_lo
	s_delay_alu instid0(VALU_DEP_3) | instskip(NEXT) | instid1(VALU_DEP_1)
	v_add_nc_u64_e32 v[2:3], v[2:3], v[4:5]
	v_add_nc_u64_e32 v[2:3], v[2:3], v[6:7]
	s_cbranch_scc0 .LBB41_71
; %bb.72:                               ;   in Loop: Header=BB41_69 Depth=1
	s_mov_b32 s8, s5
.LBB41_73:                              ;   in Loop: Header=BB41_69 Depth=1
	s_and_not1_b32 vcc_lo, exec_lo, s6
	s_cbranch_vccnz .LBB41_68
; %bb.74:                               ;   in Loop: Header=BB41_69 Depth=1
	s_lshl_b32 s8, s8, 2
	s_mov_b32 s9, s2
	s_add_co_i32 s8, s8, 0
.LBB41_75:                              ;   Parent Loop BB41_69 Depth=1
                                        ; =>  This Inner Loop Header: Depth=2
	s_delay_alu instid0(SALU_CYCLE_1)
	v_dual_mov_b32 v4, s8 :: v_dual_mov_b32 v5, s27
	s_add_co_i32 s9, s9, -1
	s_add_co_i32 s8, s8, 4
	s_cmp_lg_u32 s9, 0
	ds_load_b32 v4, v4
	s_wait_dscnt 0x0
	v_cmp_gt_i32_e32 vcc_lo, v1, v4
	v_cndmask_b32_e64 v4, 0, 1, vcc_lo
	s_delay_alu instid0(VALU_DEP_1)
	v_add_nc_u64_e32 v[2:3], v[2:3], v[4:5]
	s_cbranch_scc1 .LBB41_75
	s_branch .LBB41_68
.LBB41_76:
	s_endpgm
	.section	.rodata,"a",@progbits
	.p2align	6, 0x0
	.amdhsa_kernel _ZN9rocsparseL35csrgemm_symbolic_fill_block_per_rowILj1024ELj64ELj16384ELj137ELj64EliEEvT5_PKS1_S3_PKT4_S3_S6_S3_S6_S3_S6_PS1_21rocsparse_index_base_S8_S8_S8_bb
		.amdhsa_group_segment_fixed_size 0
		.amdhsa_private_segment_fixed_size 0
		.amdhsa_kernarg_size 108
		.amdhsa_user_sgpr_count 2
		.amdhsa_user_sgpr_dispatch_ptr 0
		.amdhsa_user_sgpr_queue_ptr 0
		.amdhsa_user_sgpr_kernarg_segment_ptr 1
		.amdhsa_user_sgpr_dispatch_id 0
		.amdhsa_user_sgpr_kernarg_preload_length 0
		.amdhsa_user_sgpr_kernarg_preload_offset 0
		.amdhsa_user_sgpr_private_segment_size 0
		.amdhsa_wavefront_size32 1
		.amdhsa_uses_dynamic_stack 0
		.amdhsa_enable_private_segment 0
		.amdhsa_system_sgpr_workgroup_id_x 1
		.amdhsa_system_sgpr_workgroup_id_y 0
		.amdhsa_system_sgpr_workgroup_id_z 0
		.amdhsa_system_sgpr_workgroup_info 0
		.amdhsa_system_vgpr_workitem_id 0
		.amdhsa_next_free_vgpr 18
		.amdhsa_next_free_sgpr 42
		.amdhsa_named_barrier_count 0
		.amdhsa_reserve_vcc 1
		.amdhsa_float_round_mode_32 0
		.amdhsa_float_round_mode_16_64 0
		.amdhsa_float_denorm_mode_32 3
		.amdhsa_float_denorm_mode_16_64 3
		.amdhsa_fp16_overflow 0
		.amdhsa_memory_ordered 1
		.amdhsa_forward_progress 1
		.amdhsa_inst_pref_size 24
		.amdhsa_round_robin_scheduling 0
		.amdhsa_exception_fp_ieee_invalid_op 0
		.amdhsa_exception_fp_denorm_src 0
		.amdhsa_exception_fp_ieee_div_zero 0
		.amdhsa_exception_fp_ieee_overflow 0
		.amdhsa_exception_fp_ieee_underflow 0
		.amdhsa_exception_fp_ieee_inexact 0
		.amdhsa_exception_int_div_zero 0
	.end_amdhsa_kernel
	.section	.text._ZN9rocsparseL35csrgemm_symbolic_fill_block_per_rowILj1024ELj64ELj16384ELj137ELj64EliEEvT5_PKS1_S3_PKT4_S3_S6_S3_S6_S3_S6_PS1_21rocsparse_index_base_S8_S8_S8_bb,"axG",@progbits,_ZN9rocsparseL35csrgemm_symbolic_fill_block_per_rowILj1024ELj64ELj16384ELj137ELj64EliEEvT5_PKS1_S3_PKT4_S3_S6_S3_S6_S3_S6_PS1_21rocsparse_index_base_S8_S8_S8_bb,comdat
.Lfunc_end41:
	.size	_ZN9rocsparseL35csrgemm_symbolic_fill_block_per_rowILj1024ELj64ELj16384ELj137ELj64EliEEvT5_PKS1_S3_PKT4_S3_S6_S3_S6_S3_S6_PS1_21rocsparse_index_base_S8_S8_S8_bb, .Lfunc_end41-_ZN9rocsparseL35csrgemm_symbolic_fill_block_per_rowILj1024ELj64ELj16384ELj137ELj64EliEEvT5_PKS1_S3_PKT4_S3_S6_S3_S6_S3_S6_PS1_21rocsparse_index_base_S8_S8_S8_bb
                                        ; -- End function
	.set _ZN9rocsparseL35csrgemm_symbolic_fill_block_per_rowILj1024ELj64ELj16384ELj137ELj64EliEEvT5_PKS1_S3_PKT4_S3_S6_S3_S6_S3_S6_PS1_21rocsparse_index_base_S8_S8_S8_bb.num_vgpr, 18
	.set _ZN9rocsparseL35csrgemm_symbolic_fill_block_per_rowILj1024ELj64ELj16384ELj137ELj64EliEEvT5_PKS1_S3_PKT4_S3_S6_S3_S6_S3_S6_PS1_21rocsparse_index_base_S8_S8_S8_bb.num_agpr, 0
	.set _ZN9rocsparseL35csrgemm_symbolic_fill_block_per_rowILj1024ELj64ELj16384ELj137ELj64EliEEvT5_PKS1_S3_PKT4_S3_S6_S3_S6_S3_S6_PS1_21rocsparse_index_base_S8_S8_S8_bb.numbered_sgpr, 42
	.set _ZN9rocsparseL35csrgemm_symbolic_fill_block_per_rowILj1024ELj64ELj16384ELj137ELj64EliEEvT5_PKS1_S3_PKT4_S3_S6_S3_S6_S3_S6_PS1_21rocsparse_index_base_S8_S8_S8_bb.num_named_barrier, 0
	.set _ZN9rocsparseL35csrgemm_symbolic_fill_block_per_rowILj1024ELj64ELj16384ELj137ELj64EliEEvT5_PKS1_S3_PKT4_S3_S6_S3_S6_S3_S6_PS1_21rocsparse_index_base_S8_S8_S8_bb.private_seg_size, 0
	.set _ZN9rocsparseL35csrgemm_symbolic_fill_block_per_rowILj1024ELj64ELj16384ELj137ELj64EliEEvT5_PKS1_S3_PKT4_S3_S6_S3_S6_S3_S6_PS1_21rocsparse_index_base_S8_S8_S8_bb.uses_vcc, 1
	.set _ZN9rocsparseL35csrgemm_symbolic_fill_block_per_rowILj1024ELj64ELj16384ELj137ELj64EliEEvT5_PKS1_S3_PKT4_S3_S6_S3_S6_S3_S6_PS1_21rocsparse_index_base_S8_S8_S8_bb.uses_flat_scratch, 0
	.set _ZN9rocsparseL35csrgemm_symbolic_fill_block_per_rowILj1024ELj64ELj16384ELj137ELj64EliEEvT5_PKS1_S3_PKT4_S3_S6_S3_S6_S3_S6_PS1_21rocsparse_index_base_S8_S8_S8_bb.has_dyn_sized_stack, 0
	.set _ZN9rocsparseL35csrgemm_symbolic_fill_block_per_rowILj1024ELj64ELj16384ELj137ELj64EliEEvT5_PKS1_S3_PKT4_S3_S6_S3_S6_S3_S6_PS1_21rocsparse_index_base_S8_S8_S8_bb.has_recursion, 0
	.set _ZN9rocsparseL35csrgemm_symbolic_fill_block_per_rowILj1024ELj64ELj16384ELj137ELj64EliEEvT5_PKS1_S3_PKT4_S3_S6_S3_S6_S3_S6_PS1_21rocsparse_index_base_S8_S8_S8_bb.has_indirect_call, 0
	.section	.AMDGPU.csdata,"",@progbits
; Kernel info:
; codeLenInByte = 2948
; TotalNumSgprs: 44
; NumVgprs: 18
; ScratchSize: 0
; MemoryBound: 0
; FloatMode: 240
; IeeeMode: 1
; LDSByteSize: 0 bytes/workgroup (compile time only)
; SGPRBlocks: 0
; VGPRBlocks: 1
; NumSGPRsForWavesPerEU: 44
; NumVGPRsForWavesPerEU: 18
; NamedBarCnt: 0
; Occupancy: 16
; WaveLimiterHint : 1
; COMPUTE_PGM_RSRC2:SCRATCH_EN: 0
; COMPUTE_PGM_RSRC2:USER_SGPR: 2
; COMPUTE_PGM_RSRC2:TRAP_HANDLER: 0
; COMPUTE_PGM_RSRC2:TGID_X_EN: 1
; COMPUTE_PGM_RSRC2:TGID_Y_EN: 0
; COMPUTE_PGM_RSRC2:TGID_Z_EN: 0
; COMPUTE_PGM_RSRC2:TIDIG_COMP_CNT: 0
	.section	.text._ZN9rocsparseL35csrgemm_symbolic_fill_block_per_rowILj1024ELj64ELj32768ELj137ELj32EliEEvT5_PKS1_S3_PKT4_S3_S6_S3_S6_S3_S6_PS1_21rocsparse_index_base_S8_S8_S8_bb,"axG",@progbits,_ZN9rocsparseL35csrgemm_symbolic_fill_block_per_rowILj1024ELj64ELj32768ELj137ELj32EliEEvT5_PKS1_S3_PKT4_S3_S6_S3_S6_S3_S6_PS1_21rocsparse_index_base_S8_S8_S8_bb,comdat
	.globl	_ZN9rocsparseL35csrgemm_symbolic_fill_block_per_rowILj1024ELj64ELj32768ELj137ELj32EliEEvT5_PKS1_S3_PKT4_S3_S6_S3_S6_S3_S6_PS1_21rocsparse_index_base_S8_S8_S8_bb ; -- Begin function _ZN9rocsparseL35csrgemm_symbolic_fill_block_per_rowILj1024ELj64ELj32768ELj137ELj32EliEEvT5_PKS1_S3_PKT4_S3_S6_S3_S6_S3_S6_PS1_21rocsparse_index_base_S8_S8_S8_bb
	.p2align	8
	.type	_ZN9rocsparseL35csrgemm_symbolic_fill_block_per_rowILj1024ELj64ELj32768ELj137ELj32EliEEvT5_PKS1_S3_PKT4_S3_S6_S3_S6_S3_S6_PS1_21rocsparse_index_base_S8_S8_S8_bb,@function
_ZN9rocsparseL35csrgemm_symbolic_fill_block_per_rowILj1024ELj64ELj32768ELj137ELj32EliEEvT5_PKS1_S3_PKT4_S3_S6_S3_S6_S3_S6_PS1_21rocsparse_index_base_S8_S8_S8_bb: ; @_ZN9rocsparseL35csrgemm_symbolic_fill_block_per_rowILj1024ELj64ELj32768ELj137ELj32EliEEvT5_PKS1_S3_PKT4_S3_S6_S3_S6_S3_S6_PS1_21rocsparse_index_base_S8_S8_S8_bb
; %bb.0:
	s_clause 0x3
	s_load_b32 s33, s[0:1], 0x0
	s_load_b128 s[36:39], s[0:1], 0x48
	s_load_b256 s[4:11], s[0:1], 0x28
	s_load_b256 s[12:19], s[0:1], 0x8
	v_lshl_add_u32 v10, v0, 2, 0
	v_or_b32_e32 v11, 0xfffffc00, v0
	s_mov_b32 s2, 0
	s_delay_alu instid0(VALU_DEP_1)
	v_dual_mov_b32 v1, v10 :: v_dual_mov_b32 v3, v11
	s_wait_kmcnt 0x0
	v_mov_b32_e32 v2, s33
.LBB42_1:                               ; =>This Inner Loop Header: Depth=1
	s_delay_alu instid0(VALU_DEP_2) | instskip(SKIP_4) | instid1(SALU_CYCLE_1)
	v_add_nc_u32_e32 v3, 0x400, v3
	ds_store_b32 v1, v2
	v_add_nc_u32_e32 v1, 0x1000, v1
	v_cmp_lt_u32_e32 vcc_lo, 0x7bff, v3
	s_or_b32 s2, vcc_lo, s2
	s_and_not1_b32 exec_lo, exec_lo, s2
	s_cbranch_execnz .LBB42_1
; %bb.2:
	s_or_b32 exec_lo, exec_lo, s2
	s_load_b32 s20, s[0:1], 0x68
	s_wait_dscnt 0x0
	s_barrier_signal -1
	s_barrier_wait -1
	s_load_b32 s2, s[12:13], 0x0
	s_getreg_b32 s21, hwreg(HW_REG_IB_STS2, 6, 4)
	s_wait_kmcnt 0x0
	s_bitcmp1_b32 s20, 0
	s_cselect_b32 s3, -1, 0
	s_bfe_u32 s12, ttmp6, 0x4000c
	s_and_b32 s13, ttmp6, 15
	s_add_co_i32 s12, s12, 1
	s_delay_alu instid0(SALU_CYCLE_1) | instskip(NEXT) | instid1(SALU_CYCLE_1)
	s_mul_i32 s12, ttmp9, s12
	s_add_co_i32 s13, s13, s12
	s_cmp_eq_u32 s21, 0
	s_cselect_b32 s12, ttmp9, s13
	s_and_b32 vcc_lo, exec_lo, s3
	s_add_co_i32 s2, s2, s12
	s_load_b128 s[40:43], s[0:1], 0x58
	s_load_b32 s34, s[14:15], s2 offset:0x0 scale_offset
	s_wait_xcnt 0x0
	s_mov_b32 s1, 0
	s_cbranch_vccz .LBB42_18
; %bb.3:
	s_wait_kmcnt 0x0
	s_ashr_i32 s35, s34, 31
	v_dual_mov_b32 v5, 0 :: v_dual_lshrrev_b32 v4, 6, v0
	s_lshl_b64 s[2:3], s[34:35], 3
	s_mov_b32 s0, s40
	s_add_nc_u64 s[2:3], s[16:17], s[2:3]
	s_load_b128 s[12:15], s[2:3], 0x0
	v_sub_nc_u64_e64 v[2:3], v[4:5], s[0:1]
	s_wait_kmcnt 0x0
	s_delay_alu instid0(VALU_DEP_1) | instskip(SKIP_2) | instid1(VALU_DEP_1)
	v_add_nc_u64_e32 v[2:3], s[12:13], v[2:3]
	s_sub_nc_u64 s[0:1], s[14:15], s[0:1]
	s_mov_b32 s12, exec_lo
	v_cmpx_gt_i64_e64 s[0:1], v[2:3]
	s_cbranch_execz .LBB42_17
; %bb.4:
	v_and_b32_e32 v4, 63, v0
	s_mov_b32 s3, 0
	s_mov_b32 s2, s41
	;; [unrolled: 1-line block ×3, first 2 shown]
	s_delay_alu instid0(VALU_DEP_1)
	v_sub_nc_u64_e64 v[4:5], v[4:5], s[2:3]
	s_branch .LBB42_6
.LBB42_5:                               ;   in Loop: Header=BB42_6 Depth=1
	s_or_b32 exec_lo, exec_lo, s14
	v_add_nc_u64_e32 v[2:3], 16, v[2:3]
	s_delay_alu instid0(VALU_DEP_1) | instskip(SKIP_1) | instid1(SALU_CYCLE_1)
	v_cmp_le_i64_e32 vcc_lo, s[0:1], v[2:3]
	s_or_b32 s13, vcc_lo, s13
	s_and_not1_b32 exec_lo, exec_lo, s13
	s_cbranch_execz .LBB42_17
.LBB42_6:                               ; =>This Loop Header: Depth=1
                                        ;     Child Loop BB42_9 Depth 2
                                        ;       Child Loop BB42_12 Depth 3
	v_lshl_add_u64 v[6:7], v[2:3], 2, s[18:19]
	s_mov_b32 s14, exec_lo
	global_load_b32 v1, v[6:7], off
	s_wait_loadcnt 0x0
	v_subrev_nc_u32_e32 v6, s40, v1
	s_delay_alu instid0(VALU_DEP_1) | instskip(NEXT) | instid1(VALU_DEP_1)
	v_ashrrev_i32_e32 v7, 31, v6
	v_lshl_add_u64 v[6:7], v[6:7], 3, s[4:5]
	global_load_b128 v[12:15], v[6:7], off
	s_wait_loadcnt 0x0
	v_sub_nc_u64_e64 v[6:7], v[14:15], s[2:3]
	v_add_nc_u64_e32 v[8:9], v[12:13], v[4:5]
	s_delay_alu instid0(VALU_DEP_1)
	v_cmpx_lt_i64_e64 v[8:9], v[6:7]
	s_cbranch_execz .LBB42_5
; %bb.7:                                ;   in Loop: Header=BB42_6 Depth=1
	s_mov_b32 s15, 0
	s_branch .LBB42_9
.LBB42_8:                               ;   in Loop: Header=BB42_9 Depth=2
	s_or_b32 exec_lo, exec_lo, s16
	v_add_nc_u64_e32 v[8:9], 64, v[8:9]
	s_delay_alu instid0(VALU_DEP_1) | instskip(SKIP_1) | instid1(SALU_CYCLE_1)
	v_cmp_ge_i64_e32 vcc_lo, v[8:9], v[6:7]
	s_or_b32 s15, vcc_lo, s15
	s_and_not1_b32 exec_lo, exec_lo, s15
	s_cbranch_execz .LBB42_5
.LBB42_9:                               ;   Parent Loop BB42_6 Depth=1
                                        ; =>  This Loop Header: Depth=2
                                        ;       Child Loop BB42_12 Depth 3
	v_lshl_add_u64 v[12:13], v[8:9], 2, s[6:7]
	s_mov_b32 s16, 0
                                        ; implicit-def: $sgpr17
	global_load_b32 v1, v[12:13], off
	s_wait_loadcnt 0x0
	v_subrev_nc_u32_e32 v1, s41, v1
	s_delay_alu instid0(VALU_DEP_1) | instskip(NEXT) | instid1(VALU_DEP_1)
	v_mul_lo_u32 v12, 0x89, v1
	v_and_b32_e32 v12, 0x7fff, v12
	s_branch .LBB42_12
.LBB42_10:                              ;   in Loop: Header=BB42_12 Depth=3
	s_or_b32 exec_lo, exec_lo, s22
	s_delay_alu instid0(SALU_CYCLE_1) | instskip(SKIP_1) | instid1(SALU_CYCLE_1)
	s_and_not1_b32 s17, s17, exec_lo
	s_and_b32 s22, s23, exec_lo
	s_or_b32 s17, s17, s22
.LBB42_11:                              ;   in Loop: Header=BB42_12 Depth=3
	s_or_b32 exec_lo, exec_lo, s21
	s_xor_b32 s21, s17, -1
	s_delay_alu instid0(SALU_CYCLE_1) | instskip(NEXT) | instid1(SALU_CYCLE_1)
	s_and_b32 s21, exec_lo, s21
	s_or_b32 s16, s21, s16
	s_delay_alu instid0(SALU_CYCLE_1)
	s_and_not1_b32 exec_lo, exec_lo, s16
	s_cbranch_execz .LBB42_8
.LBB42_12:                              ;   Parent Loop BB42_6 Depth=1
                                        ;     Parent Loop BB42_9 Depth=2
                                        ; =>    This Inner Loop Header: Depth=3
	s_delay_alu instid0(VALU_DEP_1)
	v_lshl_add_u32 v13, v12, 2, 0
	s_and_not1_b32 s17, s17, exec_lo
	s_mov_b32 s21, exec_lo
	ds_load_b32 v14, v13
	s_wait_dscnt 0x0
	v_cmpx_ne_u32_e64 v14, v1
	s_cbranch_execz .LBB42_11
; %bb.13:                               ;   in Loop: Header=BB42_12 Depth=3
	s_mov_b32 s22, exec_lo
	v_cmpx_ne_u32_e64 s33, v14
	s_xor_b32 s22, exec_lo, s22
; %bb.14:                               ;   in Loop: Header=BB42_12 Depth=3
	v_add_nc_u32_e32 v12, 1, v12
                                        ; implicit-def: $vgpr13
	s_delay_alu instid0(VALU_DEP_1)
	v_and_b32_e32 v12, 0x7fff, v12
; %bb.15:                               ;   in Loop: Header=BB42_12 Depth=3
	s_or_saveexec_b32 s22, s22
	s_mov_b32 s23, -1
	s_xor_b32 exec_lo, exec_lo, s22
	s_cbranch_execz .LBB42_10
; %bb.16:                               ;   in Loop: Header=BB42_12 Depth=3
	v_mov_b32_e32 v14, s33
	ds_cmpstore_rtn_b32 v13, v13, v1, v14
	s_wait_dscnt 0x0
	v_cmp_ne_u32_e32 vcc_lo, s33, v13
	s_or_not1_b32 s23, vcc_lo, exec_lo
	s_branch .LBB42_10
.LBB42_17:
	s_or_b32 exec_lo, exec_lo, s12
.LBB42_18:
	s_bfe_u32 s0, s20, 0x10008
	s_delay_alu instid0(SALU_CYCLE_1)
	s_cmp_eq_u32 s0, 0
	s_cbranch_scc1 .LBB42_21
; %bb.19:
	s_wait_kmcnt 0x0
	s_ashr_i32 s35, s34, 31
	v_mov_b32_e32 v1, 0
	s_lshl_b64 s[0:1], s[34:35], 3
	s_delay_alu instid0(SALU_CYCLE_1) | instskip(SKIP_4) | instid1(SALU_CYCLE_1)
	s_add_nc_u64 s[0:1], s[8:9], s[0:1]
	s_load_b128 s[4:7], s[0:1], 0x0
	s_wait_xcnt 0x0
	s_mov_b32 s1, 0
	s_mov_b32 s0, s43
	v_sub_nc_u64_e64 v[2:3], v[0:1], s[0:1]
	s_wait_kmcnt 0x0
	s_delay_alu instid0(VALU_DEP_1) | instskip(SKIP_2) | instid1(VALU_DEP_1)
	v_add_nc_u64_e32 v[2:3], s[4:5], v[2:3]
	s_sub_nc_u64 s[2:3], s[6:7], s[0:1]
	s_mov_b32 s0, exec_lo
	v_cmpx_gt_i64_e64 s[2:3], v[2:3]
	s_cbranch_execnz .LBB42_90
.LBB42_20:
	s_or_b32 exec_lo, exec_lo, s0
.LBB42_21:
	v_mbcnt_lo_u32_b32 v1, -1, 0
	v_lshrrev_b32_e32 v2, 3, v0
	v_cmp_lt_u32_e64 s0, 31, v0
	v_cmp_lt_u32_e64 s1, 63, v0
	v_cmp_lt_u32_e64 s2, 0x5f, v0
	v_xor_b32_e32 v3, 31, v1
	v_and_b32_e32 v4, 0x7c, v2
	v_mov_b32_e32 v1, 0
	v_cmp_lt_u32_e64 s3, 0x7f, v0
	v_cmp_lt_u32_e64 s4, 0x9f, v0
	v_lshrrev_b32_e64 v2, v3, -1
	v_add3_u32 v3, 0x20000, 0, v4
	v_cmp_lt_u32_e64 s5, 0xbf, v0
	v_cmp_lt_u32_e64 s6, 0xdf, v0
	;; [unrolled: 1-line block ×26, first 2 shown]
	s_mov_b32 s35, 0
	s_wait_kmcnt 0x0
	s_add_co_i32 s40, 0, 0x20000
	s_add_co_i32 s41, 0, 0x20004
	s_add_co_i32 s43, 0, 0x20008
	s_add_co_i32 s44, 0, 0x2000c
	s_add_co_i32 s45, 0, 0x20010
	s_add_co_i32 s46, 0, 0x20014
	s_add_co_i32 s47, 0, 0x20018
	s_add_co_i32 s48, 0, 0x2001c
	s_add_co_i32 s49, 0, 0x20020
	s_add_co_i32 s50, 0, 0x20024
	s_add_co_i32 s51, 0, 0x20028
	s_add_co_i32 s52, 0, 0x2002c
	s_add_co_i32 s53, 0, 0x20030
	s_add_co_i32 s54, 0, 0x20034
	s_add_co_i32 s55, 0, 0x20038
	s_add_co_i32 s56, 0, 0x2003c
	s_add_co_i32 s57, 0, 0x20040
	s_add_co_i32 s58, 0, 0x20044
	s_add_co_i32 s59, 0, 0x20048
	s_add_co_i32 s60, 0, 0x2004c
	s_add_co_i32 s61, 0, 0x20050
	s_add_co_i32 s62, 0, 0x20054
	s_add_co_i32 s63, 0, 0x20058
	s_add_co_i32 s64, 0, 0x2005c
	s_add_co_i32 s65, 0, 0x20060
	s_add_co_i32 s66, 0, 0x20064
	s_add_co_i32 s67, 0, 0x20068
	s_add_co_i32 s68, 0, 0x2006c
	s_add_co_i32 s69, 0, 0x20070
	s_add_co_i32 s70, 0, 0x20074
	s_add_co_i32 s71, 0, 0x20078
	s_add_co_i32 s72, 0, 0x2007c
	s_barrier_signal -1
	s_barrier_wait -1
	v_cmp_eq_u32_e32 vcc_lo, 0x3ff, v0
	s_branch .LBB42_23
.LBB42_22:                              ;   in Loop: Header=BB42_23 Depth=1
	s_or_b32 exec_lo, exec_lo, s31
	v_dual_mov_b32 v4, s72 :: v_dual_add_nc_u32 v11, 0x400, v11
	s_wait_dscnt 0x0
	s_barrier_signal -1
	s_barrier_wait -1
	ds_load_b32 v4, v4
	v_cmp_lt_u32_e64 s31, 0x7bff, v11
	v_add_nc_u32_e32 v10, 0x1000, v10
	s_or_b32 s35, s31, s35
	s_wait_dscnt 0x0
	v_add_nc_u32_e32 v1, v4, v1
	s_and_not1_b32 exec_lo, exec_lo, s35
	s_cbranch_execz .LBB42_98
.LBB42_23:                              ; =>This Inner Loop Header: Depth=1
	ds_load_b32 v4, v10
	s_wait_dscnt 0x0
	s_barrier_signal -1
	s_barrier_wait -1
	v_cmp_gt_i32_e64 s31, s33, v4
	s_bcnt1_i32_b32 s73, s31
	s_delay_alu instid0(SALU_CYCLE_1) | instskip(NEXT) | instid1(VALU_DEP_1)
	v_dual_mov_b32 v6, s73 :: v_dual_bitop2_b32 v5, s31, v2 bitop3:0x40
	v_bcnt_u32_b32 v5, v5, 0
	ds_store_b32 v3, v6
	s_wait_dscnt 0x0
	s_barrier_signal -1
	s_barrier_wait -1
	s_and_saveexec_b32 s73, s0
	s_cbranch_execnz .LBB42_56
; %bb.24:                               ;   in Loop: Header=BB42_23 Depth=1
	s_or_b32 exec_lo, exec_lo, s73
	s_and_saveexec_b32 s73, s1
	s_cbranch_execnz .LBB42_57
.LBB42_25:                              ;   in Loop: Header=BB42_23 Depth=1
	s_or_b32 exec_lo, exec_lo, s73
	s_and_saveexec_b32 s73, s2
	s_cbranch_execnz .LBB42_58
.LBB42_26:                              ;   in Loop: Header=BB42_23 Depth=1
	s_or_b32 exec_lo, exec_lo, s73
	s_and_saveexec_b32 s73, s3
	s_cbranch_execnz .LBB42_59
.LBB42_27:                              ;   in Loop: Header=BB42_23 Depth=1
	s_or_b32 exec_lo, exec_lo, s73
	s_and_saveexec_b32 s73, s4
	s_cbranch_execnz .LBB42_60
.LBB42_28:                              ;   in Loop: Header=BB42_23 Depth=1
	s_or_b32 exec_lo, exec_lo, s73
	s_and_saveexec_b32 s73, s5
	s_cbranch_execnz .LBB42_61
.LBB42_29:                              ;   in Loop: Header=BB42_23 Depth=1
	s_or_b32 exec_lo, exec_lo, s73
	s_and_saveexec_b32 s73, s6
	s_cbranch_execnz .LBB42_62
.LBB42_30:                              ;   in Loop: Header=BB42_23 Depth=1
	s_or_b32 exec_lo, exec_lo, s73
	s_and_saveexec_b32 s73, s7
	s_cbranch_execnz .LBB42_63
.LBB42_31:                              ;   in Loop: Header=BB42_23 Depth=1
	s_or_b32 exec_lo, exec_lo, s73
	s_and_saveexec_b32 s73, s8
	s_cbranch_execnz .LBB42_64
.LBB42_32:                              ;   in Loop: Header=BB42_23 Depth=1
	s_or_b32 exec_lo, exec_lo, s73
	s_and_saveexec_b32 s73, s9
	s_cbranch_execnz .LBB42_65
.LBB42_33:                              ;   in Loop: Header=BB42_23 Depth=1
	s_or_b32 exec_lo, exec_lo, s73
	s_and_saveexec_b32 s73, s10
	s_cbranch_execnz .LBB42_66
.LBB42_34:                              ;   in Loop: Header=BB42_23 Depth=1
	s_or_b32 exec_lo, exec_lo, s73
	s_and_saveexec_b32 s73, s11
	s_cbranch_execnz .LBB42_67
.LBB42_35:                              ;   in Loop: Header=BB42_23 Depth=1
	s_or_b32 exec_lo, exec_lo, s73
	s_and_saveexec_b32 s73, s12
	s_cbranch_execnz .LBB42_68
.LBB42_36:                              ;   in Loop: Header=BB42_23 Depth=1
	s_or_b32 exec_lo, exec_lo, s73
	s_and_saveexec_b32 s73, s13
	s_cbranch_execnz .LBB42_69
.LBB42_37:                              ;   in Loop: Header=BB42_23 Depth=1
	s_or_b32 exec_lo, exec_lo, s73
	s_and_saveexec_b32 s73, s14
	s_cbranch_execnz .LBB42_70
.LBB42_38:                              ;   in Loop: Header=BB42_23 Depth=1
	s_or_b32 exec_lo, exec_lo, s73
	s_and_saveexec_b32 s73, s15
	s_cbranch_execnz .LBB42_71
.LBB42_39:                              ;   in Loop: Header=BB42_23 Depth=1
	s_or_b32 exec_lo, exec_lo, s73
	s_and_saveexec_b32 s73, s16
	s_cbranch_execnz .LBB42_72
.LBB42_40:                              ;   in Loop: Header=BB42_23 Depth=1
	s_or_b32 exec_lo, exec_lo, s73
	s_and_saveexec_b32 s73, s17
	s_cbranch_execnz .LBB42_73
.LBB42_41:                              ;   in Loop: Header=BB42_23 Depth=1
	s_or_b32 exec_lo, exec_lo, s73
	s_and_saveexec_b32 s73, s18
	s_cbranch_execnz .LBB42_74
.LBB42_42:                              ;   in Loop: Header=BB42_23 Depth=1
	s_or_b32 exec_lo, exec_lo, s73
	s_and_saveexec_b32 s73, s19
	s_cbranch_execnz .LBB42_75
.LBB42_43:                              ;   in Loop: Header=BB42_23 Depth=1
	s_or_b32 exec_lo, exec_lo, s73
	s_and_saveexec_b32 s73, s20
	s_cbranch_execnz .LBB42_76
.LBB42_44:                              ;   in Loop: Header=BB42_23 Depth=1
	s_or_b32 exec_lo, exec_lo, s73
	s_and_saveexec_b32 s73, s21
	s_cbranch_execnz .LBB42_77
.LBB42_45:                              ;   in Loop: Header=BB42_23 Depth=1
	s_or_b32 exec_lo, exec_lo, s73
	s_and_saveexec_b32 s73, s22
	s_cbranch_execnz .LBB42_78
.LBB42_46:                              ;   in Loop: Header=BB42_23 Depth=1
	s_or_b32 exec_lo, exec_lo, s73
	s_and_saveexec_b32 s73, s23
	s_cbranch_execnz .LBB42_79
.LBB42_47:                              ;   in Loop: Header=BB42_23 Depth=1
	s_or_b32 exec_lo, exec_lo, s73
	s_and_saveexec_b32 s73, s24
	s_cbranch_execnz .LBB42_80
.LBB42_48:                              ;   in Loop: Header=BB42_23 Depth=1
	s_or_b32 exec_lo, exec_lo, s73
	s_and_saveexec_b32 s73, s25
	s_cbranch_execnz .LBB42_81
.LBB42_49:                              ;   in Loop: Header=BB42_23 Depth=1
	s_or_b32 exec_lo, exec_lo, s73
	s_and_saveexec_b32 s73, s26
	s_cbranch_execnz .LBB42_82
.LBB42_50:                              ;   in Loop: Header=BB42_23 Depth=1
	s_or_b32 exec_lo, exec_lo, s73
	s_and_saveexec_b32 s73, s27
	s_cbranch_execnz .LBB42_83
.LBB42_51:                              ;   in Loop: Header=BB42_23 Depth=1
	s_or_b32 exec_lo, exec_lo, s73
	s_and_saveexec_b32 s73, s28
	s_cbranch_execnz .LBB42_84
.LBB42_52:                              ;   in Loop: Header=BB42_23 Depth=1
	s_or_b32 exec_lo, exec_lo, s73
	s_and_saveexec_b32 s73, s29
	s_cbranch_execnz .LBB42_85
.LBB42_53:                              ;   in Loop: Header=BB42_23 Depth=1
	s_or_b32 exec_lo, exec_lo, s73
	s_and_saveexec_b32 s73, s30
	s_cbranch_execnz .LBB42_86
.LBB42_54:                              ;   in Loop: Header=BB42_23 Depth=1
	s_or_b32 exec_lo, exec_lo, s73
	s_and_saveexec_b32 s73, s31
	s_cbranch_execnz .LBB42_87
.LBB42_55:                              ;   in Loop: Header=BB42_23 Depth=1
	s_or_b32 exec_lo, exec_lo, s73
	s_and_saveexec_b32 s31, vcc_lo
	s_cbranch_execz .LBB42_22
	s_branch .LBB42_88
.LBB42_56:                              ;   in Loop: Header=BB42_23 Depth=1
	v_mov_b32_e32 v6, s40
	ds_load_b32 v6, v6
	s_wait_dscnt 0x0
	v_add_nc_u32_e32 v5, v6, v5
	s_or_b32 exec_lo, exec_lo, s73
	s_and_saveexec_b32 s73, s1
	s_cbranch_execz .LBB42_25
.LBB42_57:                              ;   in Loop: Header=BB42_23 Depth=1
	v_mov_b32_e32 v6, s41
	ds_load_b32 v6, v6
	s_wait_dscnt 0x0
	v_add_nc_u32_e32 v5, v6, v5
	s_or_b32 exec_lo, exec_lo, s73
	s_and_saveexec_b32 s73, s2
	s_cbranch_execz .LBB42_26
.LBB42_58:                              ;   in Loop: Header=BB42_23 Depth=1
	v_mov_b32_e32 v6, s43
	ds_load_b32 v6, v6
	s_wait_dscnt 0x0
	v_add_nc_u32_e32 v5, v6, v5
	s_or_b32 exec_lo, exec_lo, s73
	s_and_saveexec_b32 s73, s3
	s_cbranch_execz .LBB42_27
.LBB42_59:                              ;   in Loop: Header=BB42_23 Depth=1
	v_mov_b32_e32 v6, s44
	ds_load_b32 v6, v6
	s_wait_dscnt 0x0
	v_add_nc_u32_e32 v5, v6, v5
	s_or_b32 exec_lo, exec_lo, s73
	s_and_saveexec_b32 s73, s4
	s_cbranch_execz .LBB42_28
.LBB42_60:                              ;   in Loop: Header=BB42_23 Depth=1
	v_mov_b32_e32 v6, s45
	ds_load_b32 v6, v6
	s_wait_dscnt 0x0
	v_add_nc_u32_e32 v5, v6, v5
	s_or_b32 exec_lo, exec_lo, s73
	s_and_saveexec_b32 s73, s5
	s_cbranch_execz .LBB42_29
.LBB42_61:                              ;   in Loop: Header=BB42_23 Depth=1
	v_mov_b32_e32 v6, s46
	ds_load_b32 v6, v6
	s_wait_dscnt 0x0
	v_add_nc_u32_e32 v5, v6, v5
	s_or_b32 exec_lo, exec_lo, s73
	s_and_saveexec_b32 s73, s6
	s_cbranch_execz .LBB42_30
.LBB42_62:                              ;   in Loop: Header=BB42_23 Depth=1
	v_mov_b32_e32 v6, s47
	ds_load_b32 v6, v6
	s_wait_dscnt 0x0
	v_add_nc_u32_e32 v5, v6, v5
	s_or_b32 exec_lo, exec_lo, s73
	s_and_saveexec_b32 s73, s7
	s_cbranch_execz .LBB42_31
.LBB42_63:                              ;   in Loop: Header=BB42_23 Depth=1
	v_mov_b32_e32 v6, s48
	ds_load_b32 v6, v6
	s_wait_dscnt 0x0
	v_add_nc_u32_e32 v5, v6, v5
	s_or_b32 exec_lo, exec_lo, s73
	s_and_saveexec_b32 s73, s8
	s_cbranch_execz .LBB42_32
.LBB42_64:                              ;   in Loop: Header=BB42_23 Depth=1
	v_mov_b32_e32 v6, s49
	ds_load_b32 v6, v6
	s_wait_dscnt 0x0
	v_add_nc_u32_e32 v5, v6, v5
	s_or_b32 exec_lo, exec_lo, s73
	s_and_saveexec_b32 s73, s9
	s_cbranch_execz .LBB42_33
.LBB42_65:                              ;   in Loop: Header=BB42_23 Depth=1
	v_mov_b32_e32 v6, s50
	ds_load_b32 v6, v6
	s_wait_dscnt 0x0
	v_add_nc_u32_e32 v5, v6, v5
	s_or_b32 exec_lo, exec_lo, s73
	s_and_saveexec_b32 s73, s10
	s_cbranch_execz .LBB42_34
.LBB42_66:                              ;   in Loop: Header=BB42_23 Depth=1
	v_mov_b32_e32 v6, s51
	ds_load_b32 v6, v6
	s_wait_dscnt 0x0
	v_add_nc_u32_e32 v5, v6, v5
	s_or_b32 exec_lo, exec_lo, s73
	s_and_saveexec_b32 s73, s11
	s_cbranch_execz .LBB42_35
.LBB42_67:                              ;   in Loop: Header=BB42_23 Depth=1
	v_mov_b32_e32 v6, s52
	ds_load_b32 v6, v6
	s_wait_dscnt 0x0
	v_add_nc_u32_e32 v5, v6, v5
	s_or_b32 exec_lo, exec_lo, s73
	s_and_saveexec_b32 s73, s12
	s_cbranch_execz .LBB42_36
.LBB42_68:                              ;   in Loop: Header=BB42_23 Depth=1
	v_mov_b32_e32 v6, s53
	ds_load_b32 v6, v6
	s_wait_dscnt 0x0
	v_add_nc_u32_e32 v5, v6, v5
	s_or_b32 exec_lo, exec_lo, s73
	s_and_saveexec_b32 s73, s13
	s_cbranch_execz .LBB42_37
.LBB42_69:                              ;   in Loop: Header=BB42_23 Depth=1
	v_mov_b32_e32 v6, s54
	ds_load_b32 v6, v6
	s_wait_dscnt 0x0
	v_add_nc_u32_e32 v5, v6, v5
	s_or_b32 exec_lo, exec_lo, s73
	s_and_saveexec_b32 s73, s14
	s_cbranch_execz .LBB42_38
.LBB42_70:                              ;   in Loop: Header=BB42_23 Depth=1
	v_mov_b32_e32 v6, s55
	ds_load_b32 v6, v6
	s_wait_dscnt 0x0
	v_add_nc_u32_e32 v5, v6, v5
	s_or_b32 exec_lo, exec_lo, s73
	s_and_saveexec_b32 s73, s15
	s_cbranch_execz .LBB42_39
.LBB42_71:                              ;   in Loop: Header=BB42_23 Depth=1
	v_mov_b32_e32 v6, s56
	ds_load_b32 v6, v6
	s_wait_dscnt 0x0
	v_add_nc_u32_e32 v5, v6, v5
	s_or_b32 exec_lo, exec_lo, s73
	s_and_saveexec_b32 s73, s16
	s_cbranch_execz .LBB42_40
.LBB42_72:                              ;   in Loop: Header=BB42_23 Depth=1
	v_mov_b32_e32 v6, s57
	ds_load_b32 v6, v6
	s_wait_dscnt 0x0
	v_add_nc_u32_e32 v5, v6, v5
	s_or_b32 exec_lo, exec_lo, s73
	s_and_saveexec_b32 s73, s17
	s_cbranch_execz .LBB42_41
.LBB42_73:                              ;   in Loop: Header=BB42_23 Depth=1
	v_mov_b32_e32 v6, s58
	ds_load_b32 v6, v6
	s_wait_dscnt 0x0
	v_add_nc_u32_e32 v5, v6, v5
	s_or_b32 exec_lo, exec_lo, s73
	s_and_saveexec_b32 s73, s18
	s_cbranch_execz .LBB42_42
.LBB42_74:                              ;   in Loop: Header=BB42_23 Depth=1
	v_mov_b32_e32 v6, s59
	ds_load_b32 v6, v6
	s_wait_dscnt 0x0
	v_add_nc_u32_e32 v5, v6, v5
	s_or_b32 exec_lo, exec_lo, s73
	s_and_saveexec_b32 s73, s19
	s_cbranch_execz .LBB42_43
.LBB42_75:                              ;   in Loop: Header=BB42_23 Depth=1
	v_mov_b32_e32 v6, s60
	ds_load_b32 v6, v6
	s_wait_dscnt 0x0
	v_add_nc_u32_e32 v5, v6, v5
	s_or_b32 exec_lo, exec_lo, s73
	s_and_saveexec_b32 s73, s20
	s_cbranch_execz .LBB42_44
.LBB42_76:                              ;   in Loop: Header=BB42_23 Depth=1
	v_mov_b32_e32 v6, s61
	ds_load_b32 v6, v6
	s_wait_dscnt 0x0
	v_add_nc_u32_e32 v5, v6, v5
	s_or_b32 exec_lo, exec_lo, s73
	s_and_saveexec_b32 s73, s21
	s_cbranch_execz .LBB42_45
.LBB42_77:                              ;   in Loop: Header=BB42_23 Depth=1
	v_mov_b32_e32 v6, s62
	ds_load_b32 v6, v6
	s_wait_dscnt 0x0
	v_add_nc_u32_e32 v5, v6, v5
	s_or_b32 exec_lo, exec_lo, s73
	s_and_saveexec_b32 s73, s22
	s_cbranch_execz .LBB42_46
.LBB42_78:                              ;   in Loop: Header=BB42_23 Depth=1
	v_mov_b32_e32 v6, s63
	ds_load_b32 v6, v6
	s_wait_dscnt 0x0
	v_add_nc_u32_e32 v5, v6, v5
	s_or_b32 exec_lo, exec_lo, s73
	s_and_saveexec_b32 s73, s23
	s_cbranch_execz .LBB42_47
.LBB42_79:                              ;   in Loop: Header=BB42_23 Depth=1
	v_mov_b32_e32 v6, s64
	ds_load_b32 v6, v6
	s_wait_dscnt 0x0
	v_add_nc_u32_e32 v5, v6, v5
	s_or_b32 exec_lo, exec_lo, s73
	s_and_saveexec_b32 s73, s24
	s_cbranch_execz .LBB42_48
.LBB42_80:                              ;   in Loop: Header=BB42_23 Depth=1
	v_mov_b32_e32 v6, s65
	ds_load_b32 v6, v6
	s_wait_dscnt 0x0
	v_add_nc_u32_e32 v5, v6, v5
	s_or_b32 exec_lo, exec_lo, s73
	s_and_saveexec_b32 s73, s25
	s_cbranch_execz .LBB42_49
.LBB42_81:                              ;   in Loop: Header=BB42_23 Depth=1
	v_mov_b32_e32 v6, s66
	ds_load_b32 v6, v6
	s_wait_dscnt 0x0
	v_add_nc_u32_e32 v5, v6, v5
	s_or_b32 exec_lo, exec_lo, s73
	s_and_saveexec_b32 s73, s26
	s_cbranch_execz .LBB42_50
.LBB42_82:                              ;   in Loop: Header=BB42_23 Depth=1
	v_mov_b32_e32 v6, s67
	ds_load_b32 v6, v6
	s_wait_dscnt 0x0
	v_add_nc_u32_e32 v5, v6, v5
	s_or_b32 exec_lo, exec_lo, s73
	s_and_saveexec_b32 s73, s27
	s_cbranch_execz .LBB42_51
.LBB42_83:                              ;   in Loop: Header=BB42_23 Depth=1
	v_mov_b32_e32 v6, s68
	ds_load_b32 v6, v6
	s_wait_dscnt 0x0
	v_add_nc_u32_e32 v5, v6, v5
	s_or_b32 exec_lo, exec_lo, s73
	s_and_saveexec_b32 s73, s28
	s_cbranch_execz .LBB42_52
.LBB42_84:                              ;   in Loop: Header=BB42_23 Depth=1
	v_mov_b32_e32 v6, s69
	ds_load_b32 v6, v6
	s_wait_dscnt 0x0
	v_add_nc_u32_e32 v5, v6, v5
	s_or_b32 exec_lo, exec_lo, s73
	s_and_saveexec_b32 s73, s29
	s_cbranch_execz .LBB42_53
.LBB42_85:                              ;   in Loop: Header=BB42_23 Depth=1
	v_mov_b32_e32 v6, s70
	ds_load_b32 v6, v6
	s_wait_dscnt 0x0
	v_add_nc_u32_e32 v5, v6, v5
	s_or_b32 exec_lo, exec_lo, s73
	s_and_saveexec_b32 s73, s30
	s_cbranch_execz .LBB42_54
.LBB42_86:                              ;   in Loop: Header=BB42_23 Depth=1
	v_mov_b32_e32 v6, s71
	ds_load_b32 v6, v6
	s_wait_dscnt 0x0
	v_add_nc_u32_e32 v5, v6, v5
	s_or_b32 exec_lo, exec_lo, s73
	s_and_saveexec_b32 s73, s31
	s_cbranch_execz .LBB42_55
.LBB42_87:                              ;   in Loop: Header=BB42_23 Depth=1
	v_lshlrev_b32_e32 v6, 2, v1
	s_delay_alu instid0(VALU_DEP_1) | instskip(NEXT) | instid1(VALU_DEP_1)
	v_dual_lshlrev_b32 v7, 2, v5 :: v_dual_add_nc_u32 v6, 0, v6
	v_add3_u32 v6, v6, v7, -4
	ds_store_b32 v6, v4
	s_or_b32 exec_lo, exec_lo, s73
	s_and_saveexec_b32 s31, vcc_lo
	s_cbranch_execz .LBB42_22
.LBB42_88:                              ;   in Loop: Header=BB42_23 Depth=1
	v_mov_b32_e32 v4, s72
	ds_store_b32 v4, v5
	s_branch .LBB42_22
.LBB42_89:                              ;   in Loop: Header=BB42_90 Depth=1
	s_or_b32 exec_lo, exec_lo, s4
	v_add_nc_u64_e32 v[2:3], 0x400, v[2:3]
	s_delay_alu instid0(VALU_DEP_1) | instskip(SKIP_1) | instid1(SALU_CYCLE_1)
	v_cmp_le_i64_e32 vcc_lo, s[2:3], v[2:3]
	s_or_b32 s1, vcc_lo, s1
	s_and_not1_b32 exec_lo, exec_lo, s1
	s_cbranch_execz .LBB42_20
.LBB42_90:                              ; =>This Loop Header: Depth=1
                                        ;     Child Loop BB42_93 Depth 2
	v_lshl_add_u64 v[4:5], v[2:3], 2, s[10:11]
	s_mov_b32 s4, 0
                                        ; implicit-def: $sgpr5
	global_load_b32 v1, v[4:5], off
	s_wait_loadcnt 0x0
	v_subrev_nc_u32_e32 v1, s43, v1
	s_delay_alu instid0(VALU_DEP_1) | instskip(NEXT) | instid1(VALU_DEP_1)
	v_mul_lo_u32 v4, 0x89, v1
	v_and_b32_e32 v4, 0x7fff, v4
	s_branch .LBB42_93
.LBB42_91:                              ;   in Loop: Header=BB42_93 Depth=2
	s_or_b32 exec_lo, exec_lo, s7
	s_delay_alu instid0(SALU_CYCLE_1) | instskip(SKIP_1) | instid1(SALU_CYCLE_1)
	s_and_not1_b32 s5, s5, exec_lo
	s_and_b32 s7, s8, exec_lo
	s_or_b32 s5, s5, s7
.LBB42_92:                              ;   in Loop: Header=BB42_93 Depth=2
	s_or_b32 exec_lo, exec_lo, s6
	s_xor_b32 s6, s5, -1
	s_delay_alu instid0(SALU_CYCLE_1) | instskip(NEXT) | instid1(SALU_CYCLE_1)
	s_and_b32 s6, exec_lo, s6
	s_or_b32 s4, s6, s4
	s_delay_alu instid0(SALU_CYCLE_1)
	s_and_not1_b32 exec_lo, exec_lo, s4
	s_cbranch_execz .LBB42_89
.LBB42_93:                              ;   Parent Loop BB42_90 Depth=1
                                        ; =>  This Inner Loop Header: Depth=2
	s_delay_alu instid0(VALU_DEP_1)
	v_lshl_add_u32 v5, v4, 2, 0
	s_and_not1_b32 s5, s5, exec_lo
	s_mov_b32 s6, exec_lo
	ds_load_b32 v6, v5
	s_wait_dscnt 0x0
	v_cmpx_ne_u32_e64 v6, v1
	s_cbranch_execz .LBB42_92
; %bb.94:                               ;   in Loop: Header=BB42_93 Depth=2
	s_mov_b32 s7, exec_lo
	v_cmpx_ne_u32_e64 s33, v6
	s_xor_b32 s7, exec_lo, s7
; %bb.95:                               ;   in Loop: Header=BB42_93 Depth=2
	v_add_nc_u32_e32 v4, 1, v4
                                        ; implicit-def: $vgpr5
	s_delay_alu instid0(VALU_DEP_1)
	v_and_b32_e32 v4, 0x7fff, v4
; %bb.96:                               ;   in Loop: Header=BB42_93 Depth=2
	s_or_saveexec_b32 s7, s7
	s_mov_b32 s8, -1
	s_xor_b32 exec_lo, exec_lo, s7
	s_cbranch_execz .LBB42_91
; %bb.97:                               ;   in Loop: Header=BB42_93 Depth=2
	v_mov_b32_e32 v6, s33
	ds_cmpstore_rtn_b32 v5, v5, v1, v6
	s_wait_dscnt 0x0
	v_cmp_ne_u32_e32 vcc_lo, s33, v5
	s_or_not1_b32 s8, vcc_lo, exec_lo
	s_branch .LBB42_91
.LBB42_98:
	s_or_b32 exec_lo, exec_lo, s35
	s_ashr_i32 s35, s34, 31
	s_delay_alu instid0(SALU_CYCLE_1) | instskip(NEXT) | instid1(SALU_CYCLE_1)
	s_lshl_b64 s[0:1], s[34:35], 3
	s_add_nc_u64 s[4:5], s[36:37], s[0:1]
	s_load_b128 s[0:3], s[4:5], 0x0
	s_wait_xcnt 0x0
	s_mov_b32 s4, exec_lo
	s_wait_kmcnt 0x0
	s_sub_co_i32 s3, s2, s0
	s_delay_alu instid0(SALU_CYCLE_1)
	v_cmpx_gt_i32_e64 s3, v0
	s_cbranch_execz .LBB42_108
; %bb.99:
	s_sub_co_i32 s4, s0, s2
	s_and_b32 s2, s3, 7
	s_cmp_lt_u32 s4, -7
	s_mov_b32 s43, 0
	s_cselect_b32 s4, -1, 0
	s_and_b32 s5, s3, -8
	s_cmp_lg_u32 s2, 0
	s_sub_nc_u64 s[0:1], s[0:1], s[42:43]
	s_cselect_b32 s6, -1, 0
	s_mov_b32 s7, 0
	s_branch .LBB42_101
.LBB42_100:                             ;   in Loop: Header=BB42_101 Depth=1
	v_add_nc_u32_e32 v0, 0x400, v0
	s_wait_dscnt 0x0
	v_add_nc_u32_e32 v1, s42, v1
	s_delay_alu instid0(VALU_DEP_3) | instskip(NEXT) | instid1(VALU_DEP_3)
	v_lshl_add_u64 v[2:3], v[2:3], 2, s[38:39]
	v_cmp_le_i32_e32 vcc_lo, s3, v0
	global_store_b32 v[2:3], v1, off
	s_or_b32 s7, vcc_lo, s7
	s_wait_xcnt 0x0
	s_and_not1_b32 exec_lo, exec_lo, s7
	s_cbranch_execz .LBB42_108
.LBB42_101:                             ; =>This Loop Header: Depth=1
                                        ;     Child Loop BB42_103 Depth 2
                                        ;     Child Loop BB42_107 Depth 2
	v_lshl_add_u32 v1, v0, 2, 0
	v_mov_b64_e32 v[2:3], s[0:1]
	s_and_not1_b32 vcc_lo, exec_lo, s4
	s_mov_b32 s8, 0
	ds_load_b32 v1, v1
	s_cbranch_vccnz .LBB42_105
; %bb.102:                              ;   in Loop: Header=BB42_101 Depth=1
	v_mov_b64_e32 v[2:3], s[0:1]
	s_mov_b32 s9, 0
.LBB42_103:                             ;   Parent Loop BB42_101 Depth=1
                                        ; =>  This Inner Loop Header: Depth=2
	s_delay_alu instid0(SALU_CYCLE_1)
	v_dual_mov_b32 v8, s9 :: v_dual_mov_b32 v9, s43
	v_mov_b32_e32 v15, s43
	s_add_co_i32 s8, s8, 8
	s_add_co_i32 s9, s9, 32
	ds_load_2addr_b32 v[4:5], v8 offset1:1
	ds_load_2addr_b32 v[6:7], v8 offset0:2 offset1:3
	ds_load_2addr_b32 v[10:11], v8 offset0:4 offset1:5
	;; [unrolled: 1-line block ×3, first 2 shown]
	s_cmp_eq_u32 s5, s8
	s_wait_dscnt 0x3
	v_cmp_gt_i32_e32 vcc_lo, v1, v4
	v_cndmask_b32_e64 v8, 0, 1, vcc_lo
	v_cmp_gt_i32_e32 vcc_lo, v1, v5
	v_mov_b32_e32 v5, s43
	s_delay_alu instid0(VALU_DEP_3) | instskip(SKIP_4) | instid1(VALU_DEP_3)
	v_add_nc_u64_e32 v[2:3], v[2:3], v[8:9]
	v_cndmask_b32_e64 v14, 0, 1, vcc_lo
	s_wait_dscnt 0x2
	v_cmp_gt_i32_e32 vcc_lo, v1, v6
	v_cndmask_b32_e64 v4, 0, 1, vcc_lo
	v_add_nc_u64_e32 v[2:3], v[2:3], v[14:15]
	v_cmp_gt_i32_e32 vcc_lo, v1, v7
	v_mov_b32_e32 v7, s43
	v_cndmask_b32_e64 v8, 0, 1, vcc_lo
	s_delay_alu instid0(VALU_DEP_4) | instskip(SKIP_3) | instid1(VALU_DEP_3)
	v_add_nc_u64_e32 v[2:3], v[2:3], v[4:5]
	s_wait_dscnt 0x1
	v_cmp_gt_i32_e32 vcc_lo, v1, v10
	v_cndmask_b32_e64 v4, 0, 1, vcc_lo
	v_add_nc_u64_e32 v[2:3], v[2:3], v[8:9]
	v_cmp_gt_i32_e32 vcc_lo, v1, v11
	v_cndmask_b32_e64 v6, 0, 1, vcc_lo
	s_delay_alu instid0(VALU_DEP_3) | instskip(SKIP_3) | instid1(VALU_DEP_3)
	v_add_nc_u64_e32 v[2:3], v[2:3], v[4:5]
	s_wait_dscnt 0x0
	v_cmp_gt_i32_e32 vcc_lo, v1, v12
	v_cndmask_b32_e64 v4, 0, 1, vcc_lo
	v_add_nc_u64_e32 v[2:3], v[2:3], v[6:7]
	v_cmp_gt_i32_e32 vcc_lo, v1, v13
	v_cndmask_b32_e64 v6, 0, 1, vcc_lo
	s_delay_alu instid0(VALU_DEP_3) | instskip(NEXT) | instid1(VALU_DEP_1)
	v_add_nc_u64_e32 v[2:3], v[2:3], v[4:5]
	v_add_nc_u64_e32 v[2:3], v[2:3], v[6:7]
	s_cbranch_scc0 .LBB42_103
; %bb.104:                              ;   in Loop: Header=BB42_101 Depth=1
	s_mov_b32 s8, s5
.LBB42_105:                             ;   in Loop: Header=BB42_101 Depth=1
	s_and_not1_b32 vcc_lo, exec_lo, s6
	s_cbranch_vccnz .LBB42_100
; %bb.106:                              ;   in Loop: Header=BB42_101 Depth=1
	s_lshl_b32 s8, s8, 2
	s_mov_b32 s9, s2
	s_add_co_i32 s8, s8, 0
.LBB42_107:                             ;   Parent Loop BB42_101 Depth=1
                                        ; =>  This Inner Loop Header: Depth=2
	s_delay_alu instid0(SALU_CYCLE_1)
	v_dual_mov_b32 v4, s8 :: v_dual_mov_b32 v5, s43
	s_add_co_i32 s9, s9, -1
	s_add_co_i32 s8, s8, 4
	s_cmp_lg_u32 s9, 0
	ds_load_b32 v4, v4
	s_wait_dscnt 0x0
	v_cmp_gt_i32_e32 vcc_lo, v1, v4
	v_cndmask_b32_e64 v4, 0, 1, vcc_lo
	s_delay_alu instid0(VALU_DEP_1)
	v_add_nc_u64_e32 v[2:3], v[2:3], v[4:5]
	s_cbranch_scc1 .LBB42_107
	s_branch .LBB42_100
.LBB42_108:
	s_endpgm
	.section	.rodata,"a",@progbits
	.p2align	6, 0x0
	.amdhsa_kernel _ZN9rocsparseL35csrgemm_symbolic_fill_block_per_rowILj1024ELj64ELj32768ELj137ELj32EliEEvT5_PKS1_S3_PKT4_S3_S6_S3_S6_S3_S6_PS1_21rocsparse_index_base_S8_S8_S8_bb
		.amdhsa_group_segment_fixed_size 0
		.amdhsa_private_segment_fixed_size 0
		.amdhsa_kernarg_size 108
		.amdhsa_user_sgpr_count 2
		.amdhsa_user_sgpr_dispatch_ptr 0
		.amdhsa_user_sgpr_queue_ptr 0
		.amdhsa_user_sgpr_kernarg_segment_ptr 1
		.amdhsa_user_sgpr_dispatch_id 0
		.amdhsa_user_sgpr_kernarg_preload_length 0
		.amdhsa_user_sgpr_kernarg_preload_offset 0
		.amdhsa_user_sgpr_private_segment_size 0
		.amdhsa_wavefront_size32 1
		.amdhsa_uses_dynamic_stack 0
		.amdhsa_enable_private_segment 0
		.amdhsa_system_sgpr_workgroup_id_x 1
		.amdhsa_system_sgpr_workgroup_id_y 0
		.amdhsa_system_sgpr_workgroup_id_z 0
		.amdhsa_system_sgpr_workgroup_info 0
		.amdhsa_system_vgpr_workitem_id 0
		.amdhsa_next_free_vgpr 16
		.amdhsa_next_free_sgpr 74
		.amdhsa_named_barrier_count 0
		.amdhsa_reserve_vcc 1
		.amdhsa_float_round_mode_32 0
		.amdhsa_float_round_mode_16_64 0
		.amdhsa_float_denorm_mode_32 3
		.amdhsa_float_denorm_mode_16_64 3
		.amdhsa_fp16_overflow 0
		.amdhsa_memory_ordered 1
		.amdhsa_forward_progress 1
		.amdhsa_inst_pref_size 31
		.amdhsa_round_robin_scheduling 0
		.amdhsa_exception_fp_ieee_invalid_op 0
		.amdhsa_exception_fp_denorm_src 0
		.amdhsa_exception_fp_ieee_div_zero 0
		.amdhsa_exception_fp_ieee_overflow 0
		.amdhsa_exception_fp_ieee_underflow 0
		.amdhsa_exception_fp_ieee_inexact 0
		.amdhsa_exception_int_div_zero 0
	.end_amdhsa_kernel
	.section	.text._ZN9rocsparseL35csrgemm_symbolic_fill_block_per_rowILj1024ELj64ELj32768ELj137ELj32EliEEvT5_PKS1_S3_PKT4_S3_S6_S3_S6_S3_S6_PS1_21rocsparse_index_base_S8_S8_S8_bb,"axG",@progbits,_ZN9rocsparseL35csrgemm_symbolic_fill_block_per_rowILj1024ELj64ELj32768ELj137ELj32EliEEvT5_PKS1_S3_PKT4_S3_S6_S3_S6_S3_S6_PS1_21rocsparse_index_base_S8_S8_S8_bb,comdat
.Lfunc_end42:
	.size	_ZN9rocsparseL35csrgemm_symbolic_fill_block_per_rowILj1024ELj64ELj32768ELj137ELj32EliEEvT5_PKS1_S3_PKT4_S3_S6_S3_S6_S3_S6_PS1_21rocsparse_index_base_S8_S8_S8_bb, .Lfunc_end42-_ZN9rocsparseL35csrgemm_symbolic_fill_block_per_rowILj1024ELj64ELj32768ELj137ELj32EliEEvT5_PKS1_S3_PKT4_S3_S6_S3_S6_S3_S6_PS1_21rocsparse_index_base_S8_S8_S8_bb
                                        ; -- End function
	.set _ZN9rocsparseL35csrgemm_symbolic_fill_block_per_rowILj1024ELj64ELj32768ELj137ELj32EliEEvT5_PKS1_S3_PKT4_S3_S6_S3_S6_S3_S6_PS1_21rocsparse_index_base_S8_S8_S8_bb.num_vgpr, 16
	.set _ZN9rocsparseL35csrgemm_symbolic_fill_block_per_rowILj1024ELj64ELj32768ELj137ELj32EliEEvT5_PKS1_S3_PKT4_S3_S6_S3_S6_S3_S6_PS1_21rocsparse_index_base_S8_S8_S8_bb.num_agpr, 0
	.set _ZN9rocsparseL35csrgemm_symbolic_fill_block_per_rowILj1024ELj64ELj32768ELj137ELj32EliEEvT5_PKS1_S3_PKT4_S3_S6_S3_S6_S3_S6_PS1_21rocsparse_index_base_S8_S8_S8_bb.numbered_sgpr, 74
	.set _ZN9rocsparseL35csrgemm_symbolic_fill_block_per_rowILj1024ELj64ELj32768ELj137ELj32EliEEvT5_PKS1_S3_PKT4_S3_S6_S3_S6_S3_S6_PS1_21rocsparse_index_base_S8_S8_S8_bb.num_named_barrier, 0
	.set _ZN9rocsparseL35csrgemm_symbolic_fill_block_per_rowILj1024ELj64ELj32768ELj137ELj32EliEEvT5_PKS1_S3_PKT4_S3_S6_S3_S6_S3_S6_PS1_21rocsparse_index_base_S8_S8_S8_bb.private_seg_size, 0
	.set _ZN9rocsparseL35csrgemm_symbolic_fill_block_per_rowILj1024ELj64ELj32768ELj137ELj32EliEEvT5_PKS1_S3_PKT4_S3_S6_S3_S6_S3_S6_PS1_21rocsparse_index_base_S8_S8_S8_bb.uses_vcc, 1
	.set _ZN9rocsparseL35csrgemm_symbolic_fill_block_per_rowILj1024ELj64ELj32768ELj137ELj32EliEEvT5_PKS1_S3_PKT4_S3_S6_S3_S6_S3_S6_PS1_21rocsparse_index_base_S8_S8_S8_bb.uses_flat_scratch, 0
	.set _ZN9rocsparseL35csrgemm_symbolic_fill_block_per_rowILj1024ELj64ELj32768ELj137ELj32EliEEvT5_PKS1_S3_PKT4_S3_S6_S3_S6_S3_S6_PS1_21rocsparse_index_base_S8_S8_S8_bb.has_dyn_sized_stack, 0
	.set _ZN9rocsparseL35csrgemm_symbolic_fill_block_per_rowILj1024ELj64ELj32768ELj137ELj32EliEEvT5_PKS1_S3_PKT4_S3_S6_S3_S6_S3_S6_PS1_21rocsparse_index_base_S8_S8_S8_bb.has_recursion, 0
	.set _ZN9rocsparseL35csrgemm_symbolic_fill_block_per_rowILj1024ELj64ELj32768ELj137ELj32EliEEvT5_PKS1_S3_PKT4_S3_S6_S3_S6_S3_S6_PS1_21rocsparse_index_base_S8_S8_S8_bb.has_indirect_call, 0
	.section	.AMDGPU.csdata,"",@progbits
; Kernel info:
; codeLenInByte = 3948
; TotalNumSgprs: 76
; NumVgprs: 16
; ScratchSize: 0
; MemoryBound: 0
; FloatMode: 240
; IeeeMode: 1
; LDSByteSize: 0 bytes/workgroup (compile time only)
; SGPRBlocks: 0
; VGPRBlocks: 0
; NumSGPRsForWavesPerEU: 76
; NumVGPRsForWavesPerEU: 16
; NamedBarCnt: 0
; Occupancy: 16
; WaveLimiterHint : 1
; COMPUTE_PGM_RSRC2:SCRATCH_EN: 0
; COMPUTE_PGM_RSRC2:USER_SGPR: 2
; COMPUTE_PGM_RSRC2:TRAP_HANDLER: 0
; COMPUTE_PGM_RSRC2:TGID_X_EN: 1
; COMPUTE_PGM_RSRC2:TGID_Y_EN: 0
; COMPUTE_PGM_RSRC2:TGID_Z_EN: 0
; COMPUTE_PGM_RSRC2:TIDIG_COMP_CNT: 0
	.section	.text._ZN9rocsparseL35csrgemm_symbolic_fill_block_per_rowILj1024ELj64ELj32768ELj137ELj64EliEEvT5_PKS1_S3_PKT4_S3_S6_S3_S6_S3_S6_PS1_21rocsparse_index_base_S8_S8_S8_bb,"axG",@progbits,_ZN9rocsparseL35csrgemm_symbolic_fill_block_per_rowILj1024ELj64ELj32768ELj137ELj64EliEEvT5_PKS1_S3_PKT4_S3_S6_S3_S6_S3_S6_PS1_21rocsparse_index_base_S8_S8_S8_bb,comdat
	.globl	_ZN9rocsparseL35csrgemm_symbolic_fill_block_per_rowILj1024ELj64ELj32768ELj137ELj64EliEEvT5_PKS1_S3_PKT4_S3_S6_S3_S6_S3_S6_PS1_21rocsparse_index_base_S8_S8_S8_bb ; -- Begin function _ZN9rocsparseL35csrgemm_symbolic_fill_block_per_rowILj1024ELj64ELj32768ELj137ELj64EliEEvT5_PKS1_S3_PKT4_S3_S6_S3_S6_S3_S6_PS1_21rocsparse_index_base_S8_S8_S8_bb
	.p2align	8
	.type	_ZN9rocsparseL35csrgemm_symbolic_fill_block_per_rowILj1024ELj64ELj32768ELj137ELj64EliEEvT5_PKS1_S3_PKT4_S3_S6_S3_S6_S3_S6_PS1_21rocsparse_index_base_S8_S8_S8_bb,@function
_ZN9rocsparseL35csrgemm_symbolic_fill_block_per_rowILj1024ELj64ELj32768ELj137ELj64EliEEvT5_PKS1_S3_PKT4_S3_S6_S3_S6_S3_S6_PS1_21rocsparse_index_base_S8_S8_S8_bb: ; @_ZN9rocsparseL35csrgemm_symbolic_fill_block_per_rowILj1024ELj64ELj32768ELj137ELj64EliEEvT5_PKS1_S3_PKT4_S3_S6_S3_S6_S3_S6_PS1_21rocsparse_index_base_S8_S8_S8_bb
; %bb.0:
	s_clause 0x3
	s_load_b32 s30, s[0:1], 0x0
	s_load_b128 s[20:23], s[0:1], 0x48
	s_load_b256 s[4:11], s[0:1], 0x28
	s_load_b256 s[12:19], s[0:1], 0x8
	v_lshl_add_u32 v12, v0, 2, 0
	v_or_b32_e32 v13, 0xfffffc00, v0
	s_mov_b32 s2, 0
	s_delay_alu instid0(VALU_DEP_1)
	v_dual_mov_b32 v1, v12 :: v_dual_mov_b32 v3, v13
	s_wait_kmcnt 0x0
	v_mov_b32_e32 v2, s30
.LBB43_1:                               ; =>This Inner Loop Header: Depth=1
	s_delay_alu instid0(VALU_DEP_2) | instskip(SKIP_4) | instid1(SALU_CYCLE_1)
	v_add_nc_u32_e32 v3, 0x400, v3
	ds_store_b32 v1, v2
	v_add_nc_u32_e32 v1, 0x1000, v1
	v_cmp_lt_u32_e32 vcc_lo, 0x7bff, v3
	s_or_b32 s2, vcc_lo, s2
	s_and_not1_b32 exec_lo, exec_lo, s2
	s_cbranch_execnz .LBB43_1
; %bb.2:
	s_or_b32 exec_lo, exec_lo, s2
	s_load_b32 s31, s[0:1], 0x68
	s_wait_dscnt 0x0
	s_barrier_signal -1
	s_barrier_wait -1
	s_load_b32 s2, s[12:13], 0x0
	s_getreg_b32 s24, hwreg(HW_REG_IB_STS2, 6, 4)
	v_lshrrev_b32_e32 v2, 6, v0
	s_wait_kmcnt 0x0
	s_bitcmp1_b32 s31, 0
	s_cselect_b32 s3, -1, 0
	s_bfe_u32 s12, ttmp6, 0x4000c
	s_and_b32 s13, ttmp6, 15
	s_add_co_i32 s12, s12, 1
	s_delay_alu instid0(SALU_CYCLE_1) | instskip(NEXT) | instid1(SALU_CYCLE_1)
	s_mul_i32 s12, ttmp9, s12
	s_add_co_i32 s13, s13, s12
	s_cmp_eq_u32 s24, 0
	s_cselect_b32 s12, ttmp9, s13
	s_and_b32 vcc_lo, exec_lo, s3
	s_add_co_i32 s2, s2, s12
	s_load_b128 s[24:27], s[0:1], 0x58
	s_load_b32 s28, s[14:15], s2 offset:0x0 scale_offset
	s_wait_xcnt 0x0
	s_mov_b32 s1, 0
	s_cbranch_vccz .LBB43_18
; %bb.3:
	s_wait_kmcnt 0x0
	s_ashr_i32 s29, s28, 31
	v_mov_b32_e32 v3, 0
	s_lshl_b64 s[2:3], s[28:29], 3
	s_mov_b32 s0, s24
	s_add_nc_u64 s[2:3], s[16:17], s[2:3]
	s_delay_alu instid0(VALU_DEP_1) | instskip(SKIP_2) | instid1(VALU_DEP_1)
	v_sub_nc_u64_e64 v[4:5], v[2:3], s[0:1]
	s_load_b128 s[12:15], s[2:3], 0x0
	s_wait_kmcnt 0x0
	v_add_nc_u64_e32 v[4:5], s[12:13], v[4:5]
	s_sub_nc_u64 s[0:1], s[14:15], s[0:1]
	s_mov_b32 s12, exec_lo
	s_delay_alu instid0(VALU_DEP_1)
	v_cmpx_gt_i64_e64 s[0:1], v[4:5]
	s_cbranch_execz .LBB43_17
; %bb.4:
	v_dual_mov_b32 v7, v3 :: v_dual_bitop2_b32 v6, 63, v0 bitop3:0x40
	s_mov_b32 s3, 0
	s_mov_b32 s2, s25
	;; [unrolled: 1-line block ×3, first 2 shown]
	s_delay_alu instid0(VALU_DEP_1)
	v_sub_nc_u64_e64 v[6:7], v[6:7], s[2:3]
	s_branch .LBB43_6
.LBB43_5:                               ;   in Loop: Header=BB43_6 Depth=1
	s_or_b32 exec_lo, exec_lo, s14
	v_add_nc_u64_e32 v[4:5], 16, v[4:5]
	s_delay_alu instid0(VALU_DEP_1) | instskip(SKIP_1) | instid1(SALU_CYCLE_1)
	v_cmp_le_i64_e32 vcc_lo, s[0:1], v[4:5]
	s_or_b32 s13, vcc_lo, s13
	s_and_not1_b32 exec_lo, exec_lo, s13
	s_cbranch_execz .LBB43_17
.LBB43_6:                               ; =>This Loop Header: Depth=1
                                        ;     Child Loop BB43_9 Depth 2
                                        ;       Child Loop BB43_12 Depth 3
	v_lshl_add_u64 v[8:9], v[4:5], 2, s[18:19]
	s_mov_b32 s14, exec_lo
	global_load_b32 v1, v[8:9], off
	s_wait_loadcnt 0x0
	v_subrev_nc_u32_e32 v8, s24, v1
	s_delay_alu instid0(VALU_DEP_1) | instskip(NEXT) | instid1(VALU_DEP_1)
	v_ashrrev_i32_e32 v9, 31, v8
	v_lshl_add_u64 v[8:9], v[8:9], 3, s[4:5]
	global_load_b128 v[14:17], v[8:9], off
	s_wait_loadcnt 0x0
	v_sub_nc_u64_e64 v[8:9], v[16:17], s[2:3]
	v_add_nc_u64_e32 v[10:11], v[14:15], v[6:7]
	s_delay_alu instid0(VALU_DEP_1)
	v_cmpx_lt_i64_e64 v[10:11], v[8:9]
	s_cbranch_execz .LBB43_5
; %bb.7:                                ;   in Loop: Header=BB43_6 Depth=1
	s_mov_b32 s15, 0
	s_branch .LBB43_9
.LBB43_8:                               ;   in Loop: Header=BB43_9 Depth=2
	s_or_b32 exec_lo, exec_lo, s16
	v_add_nc_u64_e32 v[10:11], 64, v[10:11]
	s_delay_alu instid0(VALU_DEP_1) | instskip(SKIP_1) | instid1(SALU_CYCLE_1)
	v_cmp_ge_i64_e32 vcc_lo, v[10:11], v[8:9]
	s_or_b32 s15, vcc_lo, s15
	s_and_not1_b32 exec_lo, exec_lo, s15
	s_cbranch_execz .LBB43_5
.LBB43_9:                               ;   Parent Loop BB43_6 Depth=1
                                        ; =>  This Loop Header: Depth=2
                                        ;       Child Loop BB43_12 Depth 3
	v_lshl_add_u64 v[14:15], v[10:11], 2, s[6:7]
	s_mov_b32 s16, 0
                                        ; implicit-def: $sgpr17
	global_load_b32 v1, v[14:15], off
	s_wait_loadcnt 0x0
	v_subrev_nc_u32_e32 v1, s25, v1
	s_delay_alu instid0(VALU_DEP_1) | instskip(NEXT) | instid1(VALU_DEP_1)
	v_mul_lo_u32 v3, 0x89, v1
	v_and_b32_e32 v3, 0x7fff, v3
	s_branch .LBB43_12
.LBB43_10:                              ;   in Loop: Header=BB43_12 Depth=3
	s_or_b32 exec_lo, exec_lo, s33
	s_delay_alu instid0(SALU_CYCLE_1) | instskip(SKIP_1) | instid1(SALU_CYCLE_1)
	s_and_not1_b32 s17, s17, exec_lo
	s_and_b32 s33, s34, exec_lo
	s_or_b32 s17, s17, s33
.LBB43_11:                              ;   in Loop: Header=BB43_12 Depth=3
	s_or_b32 exec_lo, exec_lo, s29
	s_xor_b32 s29, s17, -1
	s_delay_alu instid0(SALU_CYCLE_1) | instskip(NEXT) | instid1(SALU_CYCLE_1)
	s_and_b32 s29, exec_lo, s29
	s_or_b32 s16, s29, s16
	s_delay_alu instid0(SALU_CYCLE_1)
	s_and_not1_b32 exec_lo, exec_lo, s16
	s_cbranch_execz .LBB43_8
.LBB43_12:                              ;   Parent Loop BB43_6 Depth=1
                                        ;     Parent Loop BB43_9 Depth=2
                                        ; =>    This Inner Loop Header: Depth=3
	s_delay_alu instid0(VALU_DEP_1)
	v_lshl_add_u32 v14, v3, 2, 0
	s_and_not1_b32 s17, s17, exec_lo
	s_mov_b32 s29, exec_lo
	ds_load_b32 v15, v14
	s_wait_dscnt 0x0
	v_cmpx_ne_u32_e64 v15, v1
	s_cbranch_execz .LBB43_11
; %bb.13:                               ;   in Loop: Header=BB43_12 Depth=3
	s_mov_b32 s33, exec_lo
	v_cmpx_ne_u32_e64 s30, v15
	s_xor_b32 s33, exec_lo, s33
; %bb.14:                               ;   in Loop: Header=BB43_12 Depth=3
	v_add_nc_u32_e32 v3, 1, v3
                                        ; implicit-def: $vgpr14
	s_delay_alu instid0(VALU_DEP_1)
	v_and_b32_e32 v3, 0x7fff, v3
; %bb.15:                               ;   in Loop: Header=BB43_12 Depth=3
	s_or_saveexec_b32 s33, s33
	s_mov_b32 s34, -1
	s_xor_b32 exec_lo, exec_lo, s33
	s_cbranch_execz .LBB43_10
; %bb.16:                               ;   in Loop: Header=BB43_12 Depth=3
	v_mov_b32_e32 v15, s30
	ds_cmpstore_rtn_b32 v14, v14, v1, v15
	s_wait_dscnt 0x0
	v_cmp_ne_u32_e32 vcc_lo, s30, v14
	s_or_not1_b32 s34, vcc_lo, exec_lo
	s_branch .LBB43_10
.LBB43_17:
	s_or_b32 exec_lo, exec_lo, s12
.LBB43_18:
	s_bfe_u32 s0, s31, 0x10008
	s_delay_alu instid0(SALU_CYCLE_1)
	s_cmp_eq_u32 s0, 0
	s_cbranch_scc1 .LBB43_21
; %bb.19:
	s_wait_kmcnt 0x0
	s_ashr_i32 s29, s28, 31
	v_mov_b32_e32 v1, 0
	s_lshl_b64 s[0:1], s[28:29], 3
	s_delay_alu instid0(SALU_CYCLE_1) | instskip(SKIP_4) | instid1(SALU_CYCLE_1)
	s_add_nc_u64 s[0:1], s[8:9], s[0:1]
	s_load_b128 s[4:7], s[0:1], 0x0
	s_wait_xcnt 0x0
	s_mov_b32 s1, 0
	s_mov_b32 s0, s27
	v_sub_nc_u64_e64 v[4:5], v[0:1], s[0:1]
	s_wait_kmcnt 0x0
	s_delay_alu instid0(VALU_DEP_1) | instskip(SKIP_2) | instid1(VALU_DEP_1)
	v_add_nc_u64_e32 v[4:5], s[4:5], v[4:5]
	s_sub_nc_u64 s[2:3], s[6:7], s[0:1]
	s_mov_b32 s0, exec_lo
	v_cmpx_gt_i64_e64 s[2:3], v[4:5]
	s_cbranch_execnz .LBB43_58
.LBB43_20:
	s_or_b32 exec_lo, exec_lo, s0
.LBB43_21:
	v_mbcnt_lo_u32_b32 v1, -1, 0
	v_lshlrev_b32_e32 v2, 2, v2
	s_add_co_i32 s36, 0, 0x2003c
	v_cmp_lt_u32_e64 s0, 63, v0
	v_cmp_lt_u32_e64 s1, 0x7f, v0
	v_dual_mov_b32 v1, 0 :: v_dual_bitop2_b32 v4, 31, v1 bitop3:0x14
	v_add3_u32 v3, 0x20000, 0, v2
	v_cmp_lt_u32_e64 s2, 0xbf, v0
	v_cmp_lt_u32_e64 s3, 0xff, v0
	s_delay_alu instid0(VALU_DEP_4)
	v_lshrrev_b32_e64 v2, v4, -1
	v_cmp_lt_u32_e64 s4, 0x13f, v0
	v_cmp_lt_u32_e64 s5, 0x17f, v0
	;; [unrolled: 1-line block ×11, first 2 shown]
	v_mov_b32_e32 v4, s36
	s_mov_b32 s16, 0
	s_add_co_i32 s17, 0, 0x20000
	s_add_co_i32 s18, 0, 0x20004
	s_add_co_i32 s19, 0, 0x20008
	s_wait_kmcnt 0x0
	s_add_co_i32 s24, 0, 0x2000c
	s_add_co_i32 s25, 0, 0x20010
	;; [unrolled: 1-line block ×12, first 2 shown]
	s_barrier_signal -1
	s_barrier_wait -1
	v_cmp_eq_u32_e32 vcc_lo, 0x3ff, v0
	s_branch .LBB43_23
.LBB43_22:                              ;   in Loop: Header=BB43_23 Depth=1
	s_or_b32 exec_lo, exec_lo, s15
	s_wait_dscnt 0x0
	s_barrier_signal -1
	s_barrier_wait -1
	ds_load_b32 v5, v4
	v_add_nc_u32_e32 v13, 0x400, v13
	v_add_nc_u32_e32 v12, 0x1000, v12
	s_delay_alu instid0(VALU_DEP_2)
	v_cmp_lt_u32_e64 s15, 0x7bff, v13
	s_or_b32 s16, s15, s16
	s_wait_dscnt 0x0
	v_add_nc_u32_e32 v1, v5, v1
	s_and_not1_b32 exec_lo, exec_lo, s16
	s_cbranch_execz .LBB43_66
.LBB43_23:                              ; =>This Inner Loop Header: Depth=1
	ds_load_b32 v5, v12
	s_wait_dscnt 0x0
	s_barrier_signal -1
	s_barrier_wait -1
	v_cmp_gt_i32_e64 s15, s30, v5
	s_bcnt1_i32_b32 s41, s15
	s_delay_alu instid0(SALU_CYCLE_1) | instskip(NEXT) | instid1(VALU_DEP_1)
	v_dual_mov_b32 v7, s41 :: v_dual_bitop2_b32 v6, s15, v2 bitop3:0x40
	v_bcnt_u32_b32 v6, v6, 0
	ds_store_b32 v3, v7
	s_wait_dscnt 0x0
	s_barrier_signal -1
	s_barrier_wait -1
	s_and_saveexec_b32 s41, s0
	s_cbranch_execnz .LBB43_40
; %bb.24:                               ;   in Loop: Header=BB43_23 Depth=1
	s_or_b32 exec_lo, exec_lo, s41
	s_and_saveexec_b32 s41, s1
	s_cbranch_execnz .LBB43_41
.LBB43_25:                              ;   in Loop: Header=BB43_23 Depth=1
	s_or_b32 exec_lo, exec_lo, s41
	s_and_saveexec_b32 s41, s2
	s_cbranch_execnz .LBB43_42
.LBB43_26:                              ;   in Loop: Header=BB43_23 Depth=1
	s_or_b32 exec_lo, exec_lo, s41
	s_and_saveexec_b32 s41, s3
	s_cbranch_execnz .LBB43_43
.LBB43_27:                              ;   in Loop: Header=BB43_23 Depth=1
	s_or_b32 exec_lo, exec_lo, s41
	s_and_saveexec_b32 s41, s4
	s_cbranch_execnz .LBB43_44
.LBB43_28:                              ;   in Loop: Header=BB43_23 Depth=1
	s_or_b32 exec_lo, exec_lo, s41
	s_and_saveexec_b32 s41, s5
	s_cbranch_execnz .LBB43_45
.LBB43_29:                              ;   in Loop: Header=BB43_23 Depth=1
	s_or_b32 exec_lo, exec_lo, s41
	s_and_saveexec_b32 s41, s6
	s_cbranch_execnz .LBB43_46
.LBB43_30:                              ;   in Loop: Header=BB43_23 Depth=1
	s_or_b32 exec_lo, exec_lo, s41
	s_and_saveexec_b32 s41, s7
	s_cbranch_execnz .LBB43_47
.LBB43_31:                              ;   in Loop: Header=BB43_23 Depth=1
	s_or_b32 exec_lo, exec_lo, s41
	s_and_saveexec_b32 s41, s8
	s_cbranch_execnz .LBB43_48
.LBB43_32:                              ;   in Loop: Header=BB43_23 Depth=1
	s_or_b32 exec_lo, exec_lo, s41
	s_and_saveexec_b32 s41, s9
	s_cbranch_execnz .LBB43_49
.LBB43_33:                              ;   in Loop: Header=BB43_23 Depth=1
	s_or_b32 exec_lo, exec_lo, s41
	s_and_saveexec_b32 s41, s10
	s_cbranch_execnz .LBB43_50
.LBB43_34:                              ;   in Loop: Header=BB43_23 Depth=1
	s_or_b32 exec_lo, exec_lo, s41
	s_and_saveexec_b32 s41, s11
	s_cbranch_execnz .LBB43_51
.LBB43_35:                              ;   in Loop: Header=BB43_23 Depth=1
	s_or_b32 exec_lo, exec_lo, s41
	s_and_saveexec_b32 s41, s12
	s_cbranch_execnz .LBB43_52
.LBB43_36:                              ;   in Loop: Header=BB43_23 Depth=1
	s_or_b32 exec_lo, exec_lo, s41
	s_and_saveexec_b32 s41, s13
	s_cbranch_execnz .LBB43_53
.LBB43_37:                              ;   in Loop: Header=BB43_23 Depth=1
	s_or_b32 exec_lo, exec_lo, s41
	s_and_saveexec_b32 s41, s14
	s_cbranch_execnz .LBB43_54
.LBB43_38:                              ;   in Loop: Header=BB43_23 Depth=1
	s_or_b32 exec_lo, exec_lo, s41
	s_and_saveexec_b32 s41, s15
	s_cbranch_execnz .LBB43_55
.LBB43_39:                              ;   in Loop: Header=BB43_23 Depth=1
	s_or_b32 exec_lo, exec_lo, s41
	s_and_saveexec_b32 s15, vcc_lo
	s_cbranch_execz .LBB43_22
	s_branch .LBB43_56
.LBB43_40:                              ;   in Loop: Header=BB43_23 Depth=1
	v_mov_b32_e32 v7, s17
	ds_load_b32 v7, v7
	s_wait_dscnt 0x0
	v_add_nc_u32_e32 v6, v7, v6
	s_or_b32 exec_lo, exec_lo, s41
	s_and_saveexec_b32 s41, s1
	s_cbranch_execz .LBB43_25
.LBB43_41:                              ;   in Loop: Header=BB43_23 Depth=1
	v_mov_b32_e32 v7, s18
	ds_load_b32 v7, v7
	s_wait_dscnt 0x0
	v_add_nc_u32_e32 v6, v7, v6
	s_or_b32 exec_lo, exec_lo, s41
	s_and_saveexec_b32 s41, s2
	s_cbranch_execz .LBB43_26
.LBB43_42:                              ;   in Loop: Header=BB43_23 Depth=1
	v_mov_b32_e32 v7, s19
	ds_load_b32 v7, v7
	s_wait_dscnt 0x0
	v_add_nc_u32_e32 v6, v7, v6
	s_or_b32 exec_lo, exec_lo, s41
	s_and_saveexec_b32 s41, s3
	s_cbranch_execz .LBB43_27
.LBB43_43:                              ;   in Loop: Header=BB43_23 Depth=1
	v_mov_b32_e32 v7, s24
	ds_load_b32 v7, v7
	s_wait_dscnt 0x0
	v_add_nc_u32_e32 v6, v7, v6
	s_or_b32 exec_lo, exec_lo, s41
	s_and_saveexec_b32 s41, s4
	s_cbranch_execz .LBB43_28
.LBB43_44:                              ;   in Loop: Header=BB43_23 Depth=1
	v_mov_b32_e32 v7, s25
	ds_load_b32 v7, v7
	s_wait_dscnt 0x0
	v_add_nc_u32_e32 v6, v7, v6
	s_or_b32 exec_lo, exec_lo, s41
	s_and_saveexec_b32 s41, s5
	s_cbranch_execz .LBB43_29
.LBB43_45:                              ;   in Loop: Header=BB43_23 Depth=1
	v_mov_b32_e32 v7, s27
	ds_load_b32 v7, v7
	s_wait_dscnt 0x0
	v_add_nc_u32_e32 v6, v7, v6
	s_or_b32 exec_lo, exec_lo, s41
	s_and_saveexec_b32 s41, s6
	s_cbranch_execz .LBB43_30
.LBB43_46:                              ;   in Loop: Header=BB43_23 Depth=1
	v_mov_b32_e32 v7, s29
	ds_load_b32 v7, v7
	s_wait_dscnt 0x0
	v_add_nc_u32_e32 v6, v7, v6
	s_or_b32 exec_lo, exec_lo, s41
	s_and_saveexec_b32 s41, s7
	s_cbranch_execz .LBB43_31
.LBB43_47:                              ;   in Loop: Header=BB43_23 Depth=1
	v_mov_b32_e32 v7, s31
	ds_load_b32 v7, v7
	s_wait_dscnt 0x0
	v_add_nc_u32_e32 v6, v7, v6
	s_or_b32 exec_lo, exec_lo, s41
	s_and_saveexec_b32 s41, s8
	s_cbranch_execz .LBB43_32
.LBB43_48:                              ;   in Loop: Header=BB43_23 Depth=1
	v_mov_b32_e32 v7, s33
	ds_load_b32 v7, v7
	s_wait_dscnt 0x0
	v_add_nc_u32_e32 v6, v7, v6
	s_or_b32 exec_lo, exec_lo, s41
	s_and_saveexec_b32 s41, s9
	s_cbranch_execz .LBB43_33
.LBB43_49:                              ;   in Loop: Header=BB43_23 Depth=1
	v_mov_b32_e32 v7, s34
	ds_load_b32 v7, v7
	s_wait_dscnt 0x0
	v_add_nc_u32_e32 v6, v7, v6
	s_or_b32 exec_lo, exec_lo, s41
	s_and_saveexec_b32 s41, s10
	s_cbranch_execz .LBB43_34
.LBB43_50:                              ;   in Loop: Header=BB43_23 Depth=1
	v_mov_b32_e32 v7, s35
	ds_load_b32 v7, v7
	s_wait_dscnt 0x0
	v_add_nc_u32_e32 v6, v7, v6
	s_or_b32 exec_lo, exec_lo, s41
	s_and_saveexec_b32 s41, s11
	s_cbranch_execz .LBB43_35
.LBB43_51:                              ;   in Loop: Header=BB43_23 Depth=1
	v_mov_b32_e32 v7, s37
	ds_load_b32 v7, v7
	s_wait_dscnt 0x0
	v_add_nc_u32_e32 v6, v7, v6
	s_or_b32 exec_lo, exec_lo, s41
	s_and_saveexec_b32 s41, s12
	s_cbranch_execz .LBB43_36
.LBB43_52:                              ;   in Loop: Header=BB43_23 Depth=1
	v_mov_b32_e32 v7, s38
	ds_load_b32 v7, v7
	s_wait_dscnt 0x0
	v_add_nc_u32_e32 v6, v7, v6
	s_or_b32 exec_lo, exec_lo, s41
	s_and_saveexec_b32 s41, s13
	s_cbranch_execz .LBB43_37
.LBB43_53:                              ;   in Loop: Header=BB43_23 Depth=1
	v_mov_b32_e32 v7, s39
	ds_load_b32 v7, v7
	s_wait_dscnt 0x0
	v_add_nc_u32_e32 v6, v7, v6
	s_or_b32 exec_lo, exec_lo, s41
	s_and_saveexec_b32 s41, s14
	s_cbranch_execz .LBB43_38
.LBB43_54:                              ;   in Loop: Header=BB43_23 Depth=1
	v_mov_b32_e32 v7, s40
	ds_load_b32 v7, v7
	s_wait_dscnt 0x0
	v_add_nc_u32_e32 v6, v7, v6
	s_or_b32 exec_lo, exec_lo, s41
	s_and_saveexec_b32 s41, s15
	s_cbranch_execz .LBB43_39
.LBB43_55:                              ;   in Loop: Header=BB43_23 Depth=1
	s_delay_alu instid0(VALU_DEP_1) | instskip(NEXT) | instid1(VALU_DEP_1)
	v_dual_lshlrev_b32 v7, 2, v1 :: v_dual_lshlrev_b32 v8, 2, v6
	v_add_nc_u32_e32 v7, 0, v7
	s_delay_alu instid0(VALU_DEP_1)
	v_add3_u32 v7, v7, v8, -4
	ds_store_b32 v7, v5
	s_or_b32 exec_lo, exec_lo, s41
	s_and_saveexec_b32 s15, vcc_lo
	s_cbranch_execz .LBB43_22
.LBB43_56:                              ;   in Loop: Header=BB43_23 Depth=1
	v_mov_b32_e32 v5, s36
	ds_store_b32 v5, v6
	s_branch .LBB43_22
.LBB43_57:                              ;   in Loop: Header=BB43_58 Depth=1
	s_or_b32 exec_lo, exec_lo, s4
	v_add_nc_u64_e32 v[4:5], 0x400, v[4:5]
	s_delay_alu instid0(VALU_DEP_1) | instskip(SKIP_1) | instid1(SALU_CYCLE_1)
	v_cmp_le_i64_e32 vcc_lo, s[2:3], v[4:5]
	s_or_b32 s1, vcc_lo, s1
	s_and_not1_b32 exec_lo, exec_lo, s1
	s_cbranch_execz .LBB43_20
.LBB43_58:                              ; =>This Loop Header: Depth=1
                                        ;     Child Loop BB43_61 Depth 2
	v_lshl_add_u64 v[6:7], v[4:5], 2, s[10:11]
	s_mov_b32 s4, 0
                                        ; implicit-def: $sgpr5
	global_load_b32 v1, v[6:7], off
	s_wait_loadcnt 0x0
	v_subrev_nc_u32_e32 v1, s27, v1
	s_delay_alu instid0(VALU_DEP_1) | instskip(NEXT) | instid1(VALU_DEP_1)
	v_mul_lo_u32 v3, 0x89, v1
	v_and_b32_e32 v3, 0x7fff, v3
	s_branch .LBB43_61
.LBB43_59:                              ;   in Loop: Header=BB43_61 Depth=2
	s_or_b32 exec_lo, exec_lo, s7
	s_delay_alu instid0(SALU_CYCLE_1) | instskip(SKIP_1) | instid1(SALU_CYCLE_1)
	s_and_not1_b32 s5, s5, exec_lo
	s_and_b32 s7, s8, exec_lo
	s_or_b32 s5, s5, s7
.LBB43_60:                              ;   in Loop: Header=BB43_61 Depth=2
	s_or_b32 exec_lo, exec_lo, s6
	s_xor_b32 s6, s5, -1
	s_delay_alu instid0(SALU_CYCLE_1) | instskip(NEXT) | instid1(SALU_CYCLE_1)
	s_and_b32 s6, exec_lo, s6
	s_or_b32 s4, s6, s4
	s_delay_alu instid0(SALU_CYCLE_1)
	s_and_not1_b32 exec_lo, exec_lo, s4
	s_cbranch_execz .LBB43_57
.LBB43_61:                              ;   Parent Loop BB43_58 Depth=1
                                        ; =>  This Inner Loop Header: Depth=2
	s_delay_alu instid0(VALU_DEP_1)
	v_lshl_add_u32 v6, v3, 2, 0
	s_and_not1_b32 s5, s5, exec_lo
	s_mov_b32 s6, exec_lo
	ds_load_b32 v7, v6
	s_wait_dscnt 0x0
	v_cmpx_ne_u32_e64 v7, v1
	s_cbranch_execz .LBB43_60
; %bb.62:                               ;   in Loop: Header=BB43_61 Depth=2
	s_mov_b32 s7, exec_lo
	v_cmpx_ne_u32_e64 s30, v7
	s_xor_b32 s7, exec_lo, s7
; %bb.63:                               ;   in Loop: Header=BB43_61 Depth=2
	v_add_nc_u32_e32 v3, 1, v3
                                        ; implicit-def: $vgpr6
	s_delay_alu instid0(VALU_DEP_1)
	v_and_b32_e32 v3, 0x7fff, v3
; %bb.64:                               ;   in Loop: Header=BB43_61 Depth=2
	s_or_saveexec_b32 s7, s7
	s_mov_b32 s8, -1
	s_xor_b32 exec_lo, exec_lo, s7
	s_cbranch_execz .LBB43_59
; %bb.65:                               ;   in Loop: Header=BB43_61 Depth=2
	v_mov_b32_e32 v7, s30
	ds_cmpstore_rtn_b32 v6, v6, v1, v7
	s_wait_dscnt 0x0
	v_cmp_ne_u32_e32 vcc_lo, s30, v6
	s_or_not1_b32 s8, vcc_lo, exec_lo
	s_branch .LBB43_59
.LBB43_66:
	s_or_b32 exec_lo, exec_lo, s16
	s_ashr_i32 s29, s28, 31
	s_delay_alu instid0(SALU_CYCLE_1) | instskip(NEXT) | instid1(SALU_CYCLE_1)
	s_lshl_b64 s[0:1], s[28:29], 3
	s_add_nc_u64 s[4:5], s[20:21], s[0:1]
	s_load_b128 s[0:3], s[4:5], 0x0
	s_wait_xcnt 0x0
	s_mov_b32 s4, exec_lo
	s_wait_kmcnt 0x0
	s_sub_co_i32 s3, s2, s0
	s_delay_alu instid0(SALU_CYCLE_1)
	v_cmpx_gt_i32_e64 s3, v0
	s_cbranch_execz .LBB43_76
; %bb.67:
	s_sub_co_i32 s4, s0, s2
	s_and_b32 s2, s3, 7
	s_cmp_lt_u32 s4, -7
	s_mov_b32 s27, 0
	s_cselect_b32 s4, -1, 0
	s_and_b32 s5, s3, -8
	s_cmp_lg_u32 s2, 0
	s_sub_nc_u64 s[0:1], s[0:1], s[26:27]
	s_cselect_b32 s6, -1, 0
	s_mov_b32 s7, 0
	s_branch .LBB43_69
.LBB43_68:                              ;   in Loop: Header=BB43_69 Depth=1
	v_add_nc_u32_e32 v0, 0x400, v0
	s_wait_dscnt 0x0
	v_add_nc_u32_e32 v1, s26, v1
	s_delay_alu instid0(VALU_DEP_3) | instskip(NEXT) | instid1(VALU_DEP_3)
	v_lshl_add_u64 v[2:3], v[2:3], 2, s[22:23]
	v_cmp_le_i32_e32 vcc_lo, s3, v0
	global_store_b32 v[2:3], v1, off
	s_or_b32 s7, vcc_lo, s7
	s_wait_xcnt 0x0
	s_and_not1_b32 exec_lo, exec_lo, s7
	s_cbranch_execz .LBB43_76
.LBB43_69:                              ; =>This Loop Header: Depth=1
                                        ;     Child Loop BB43_71 Depth 2
                                        ;     Child Loop BB43_75 Depth 2
	v_lshl_add_u32 v1, v0, 2, 0
	v_mov_b64_e32 v[2:3], s[0:1]
	s_and_not1_b32 vcc_lo, exec_lo, s4
	s_mov_b32 s8, 0
	ds_load_b32 v1, v1
	s_cbranch_vccnz .LBB43_73
; %bb.70:                               ;   in Loop: Header=BB43_69 Depth=1
	v_mov_b64_e32 v[2:3], s[0:1]
	s_mov_b32 s9, 0
.LBB43_71:                              ;   Parent Loop BB43_69 Depth=1
                                        ; =>  This Inner Loop Header: Depth=2
	s_delay_alu instid0(SALU_CYCLE_1)
	v_dual_mov_b32 v8, s9 :: v_dual_mov_b32 v9, s27
	v_mov_b32_e32 v15, s27
	s_add_co_i32 s8, s8, 8
	s_add_co_i32 s9, s9, 32
	ds_load_2addr_b32 v[4:5], v8 offset1:1
	ds_load_2addr_b32 v[6:7], v8 offset0:2 offset1:3
	ds_load_2addr_b32 v[10:11], v8 offset0:4 offset1:5
	;; [unrolled: 1-line block ×3, first 2 shown]
	s_cmp_eq_u32 s5, s8
	s_wait_dscnt 0x3
	v_cmp_gt_i32_e32 vcc_lo, v1, v4
	v_cndmask_b32_e64 v8, 0, 1, vcc_lo
	v_cmp_gt_i32_e32 vcc_lo, v1, v5
	v_mov_b32_e32 v5, s27
	s_delay_alu instid0(VALU_DEP_3) | instskip(SKIP_4) | instid1(VALU_DEP_3)
	v_add_nc_u64_e32 v[2:3], v[2:3], v[8:9]
	v_cndmask_b32_e64 v14, 0, 1, vcc_lo
	s_wait_dscnt 0x2
	v_cmp_gt_i32_e32 vcc_lo, v1, v6
	v_cndmask_b32_e64 v4, 0, 1, vcc_lo
	v_add_nc_u64_e32 v[2:3], v[2:3], v[14:15]
	v_cmp_gt_i32_e32 vcc_lo, v1, v7
	v_mov_b32_e32 v7, s27
	v_cndmask_b32_e64 v8, 0, 1, vcc_lo
	s_delay_alu instid0(VALU_DEP_4) | instskip(SKIP_3) | instid1(VALU_DEP_3)
	v_add_nc_u64_e32 v[2:3], v[2:3], v[4:5]
	s_wait_dscnt 0x1
	v_cmp_gt_i32_e32 vcc_lo, v1, v10
	v_cndmask_b32_e64 v4, 0, 1, vcc_lo
	v_add_nc_u64_e32 v[2:3], v[2:3], v[8:9]
	v_cmp_gt_i32_e32 vcc_lo, v1, v11
	v_cndmask_b32_e64 v6, 0, 1, vcc_lo
	s_delay_alu instid0(VALU_DEP_3) | instskip(SKIP_3) | instid1(VALU_DEP_3)
	v_add_nc_u64_e32 v[2:3], v[2:3], v[4:5]
	s_wait_dscnt 0x0
	v_cmp_gt_i32_e32 vcc_lo, v1, v12
	v_cndmask_b32_e64 v4, 0, 1, vcc_lo
	v_add_nc_u64_e32 v[2:3], v[2:3], v[6:7]
	v_cmp_gt_i32_e32 vcc_lo, v1, v13
	v_cndmask_b32_e64 v6, 0, 1, vcc_lo
	s_delay_alu instid0(VALU_DEP_3) | instskip(NEXT) | instid1(VALU_DEP_1)
	v_add_nc_u64_e32 v[2:3], v[2:3], v[4:5]
	v_add_nc_u64_e32 v[2:3], v[2:3], v[6:7]
	s_cbranch_scc0 .LBB43_71
; %bb.72:                               ;   in Loop: Header=BB43_69 Depth=1
	s_mov_b32 s8, s5
.LBB43_73:                              ;   in Loop: Header=BB43_69 Depth=1
	s_and_not1_b32 vcc_lo, exec_lo, s6
	s_cbranch_vccnz .LBB43_68
; %bb.74:                               ;   in Loop: Header=BB43_69 Depth=1
	s_lshl_b32 s8, s8, 2
	s_mov_b32 s9, s2
	s_add_co_i32 s8, s8, 0
.LBB43_75:                              ;   Parent Loop BB43_69 Depth=1
                                        ; =>  This Inner Loop Header: Depth=2
	s_delay_alu instid0(SALU_CYCLE_1)
	v_dual_mov_b32 v4, s8 :: v_dual_mov_b32 v5, s27
	s_add_co_i32 s9, s9, -1
	s_add_co_i32 s8, s8, 4
	s_cmp_lg_u32 s9, 0
	ds_load_b32 v4, v4
	s_wait_dscnt 0x0
	v_cmp_gt_i32_e32 vcc_lo, v1, v4
	v_cndmask_b32_e64 v4, 0, 1, vcc_lo
	s_delay_alu instid0(VALU_DEP_1)
	v_add_nc_u64_e32 v[2:3], v[2:3], v[4:5]
	s_cbranch_scc1 .LBB43_75
	s_branch .LBB43_68
.LBB43_76:
	s_endpgm
	.section	.rodata,"a",@progbits
	.p2align	6, 0x0
	.amdhsa_kernel _ZN9rocsparseL35csrgemm_symbolic_fill_block_per_rowILj1024ELj64ELj32768ELj137ELj64EliEEvT5_PKS1_S3_PKT4_S3_S6_S3_S6_S3_S6_PS1_21rocsparse_index_base_S8_S8_S8_bb
		.amdhsa_group_segment_fixed_size 0
		.amdhsa_private_segment_fixed_size 0
		.amdhsa_kernarg_size 108
		.amdhsa_user_sgpr_count 2
		.amdhsa_user_sgpr_dispatch_ptr 0
		.amdhsa_user_sgpr_queue_ptr 0
		.amdhsa_user_sgpr_kernarg_segment_ptr 1
		.amdhsa_user_sgpr_dispatch_id 0
		.amdhsa_user_sgpr_kernarg_preload_length 0
		.amdhsa_user_sgpr_kernarg_preload_offset 0
		.amdhsa_user_sgpr_private_segment_size 0
		.amdhsa_wavefront_size32 1
		.amdhsa_uses_dynamic_stack 0
		.amdhsa_enable_private_segment 0
		.amdhsa_system_sgpr_workgroup_id_x 1
		.amdhsa_system_sgpr_workgroup_id_y 0
		.amdhsa_system_sgpr_workgroup_id_z 0
		.amdhsa_system_sgpr_workgroup_info 0
		.amdhsa_system_vgpr_workitem_id 0
		.amdhsa_next_free_vgpr 18
		.amdhsa_next_free_sgpr 42
		.amdhsa_named_barrier_count 0
		.amdhsa_reserve_vcc 1
		.amdhsa_float_round_mode_32 0
		.amdhsa_float_round_mode_16_64 0
		.amdhsa_float_denorm_mode_32 3
		.amdhsa_float_denorm_mode_16_64 3
		.amdhsa_fp16_overflow 0
		.amdhsa_memory_ordered 1
		.amdhsa_forward_progress 1
		.amdhsa_inst_pref_size 24
		.amdhsa_round_robin_scheduling 0
		.amdhsa_exception_fp_ieee_invalid_op 0
		.amdhsa_exception_fp_denorm_src 0
		.amdhsa_exception_fp_ieee_div_zero 0
		.amdhsa_exception_fp_ieee_overflow 0
		.amdhsa_exception_fp_ieee_underflow 0
		.amdhsa_exception_fp_ieee_inexact 0
		.amdhsa_exception_int_div_zero 0
	.end_amdhsa_kernel
	.section	.text._ZN9rocsparseL35csrgemm_symbolic_fill_block_per_rowILj1024ELj64ELj32768ELj137ELj64EliEEvT5_PKS1_S3_PKT4_S3_S6_S3_S6_S3_S6_PS1_21rocsparse_index_base_S8_S8_S8_bb,"axG",@progbits,_ZN9rocsparseL35csrgemm_symbolic_fill_block_per_rowILj1024ELj64ELj32768ELj137ELj64EliEEvT5_PKS1_S3_PKT4_S3_S6_S3_S6_S3_S6_PS1_21rocsparse_index_base_S8_S8_S8_bb,comdat
.Lfunc_end43:
	.size	_ZN9rocsparseL35csrgemm_symbolic_fill_block_per_rowILj1024ELj64ELj32768ELj137ELj64EliEEvT5_PKS1_S3_PKT4_S3_S6_S3_S6_S3_S6_PS1_21rocsparse_index_base_S8_S8_S8_bb, .Lfunc_end43-_ZN9rocsparseL35csrgemm_symbolic_fill_block_per_rowILj1024ELj64ELj32768ELj137ELj64EliEEvT5_PKS1_S3_PKT4_S3_S6_S3_S6_S3_S6_PS1_21rocsparse_index_base_S8_S8_S8_bb
                                        ; -- End function
	.set _ZN9rocsparseL35csrgemm_symbolic_fill_block_per_rowILj1024ELj64ELj32768ELj137ELj64EliEEvT5_PKS1_S3_PKT4_S3_S6_S3_S6_S3_S6_PS1_21rocsparse_index_base_S8_S8_S8_bb.num_vgpr, 18
	.set _ZN9rocsparseL35csrgemm_symbolic_fill_block_per_rowILj1024ELj64ELj32768ELj137ELj64EliEEvT5_PKS1_S3_PKT4_S3_S6_S3_S6_S3_S6_PS1_21rocsparse_index_base_S8_S8_S8_bb.num_agpr, 0
	.set _ZN9rocsparseL35csrgemm_symbolic_fill_block_per_rowILj1024ELj64ELj32768ELj137ELj64EliEEvT5_PKS1_S3_PKT4_S3_S6_S3_S6_S3_S6_PS1_21rocsparse_index_base_S8_S8_S8_bb.numbered_sgpr, 42
	.set _ZN9rocsparseL35csrgemm_symbolic_fill_block_per_rowILj1024ELj64ELj32768ELj137ELj64EliEEvT5_PKS1_S3_PKT4_S3_S6_S3_S6_S3_S6_PS1_21rocsparse_index_base_S8_S8_S8_bb.num_named_barrier, 0
	.set _ZN9rocsparseL35csrgemm_symbolic_fill_block_per_rowILj1024ELj64ELj32768ELj137ELj64EliEEvT5_PKS1_S3_PKT4_S3_S6_S3_S6_S3_S6_PS1_21rocsparse_index_base_S8_S8_S8_bb.private_seg_size, 0
	.set _ZN9rocsparseL35csrgemm_symbolic_fill_block_per_rowILj1024ELj64ELj32768ELj137ELj64EliEEvT5_PKS1_S3_PKT4_S3_S6_S3_S6_S3_S6_PS1_21rocsparse_index_base_S8_S8_S8_bb.uses_vcc, 1
	.set _ZN9rocsparseL35csrgemm_symbolic_fill_block_per_rowILj1024ELj64ELj32768ELj137ELj64EliEEvT5_PKS1_S3_PKT4_S3_S6_S3_S6_S3_S6_PS1_21rocsparse_index_base_S8_S8_S8_bb.uses_flat_scratch, 0
	.set _ZN9rocsparseL35csrgemm_symbolic_fill_block_per_rowILj1024ELj64ELj32768ELj137ELj64EliEEvT5_PKS1_S3_PKT4_S3_S6_S3_S6_S3_S6_PS1_21rocsparse_index_base_S8_S8_S8_bb.has_dyn_sized_stack, 0
	.set _ZN9rocsparseL35csrgemm_symbolic_fill_block_per_rowILj1024ELj64ELj32768ELj137ELj64EliEEvT5_PKS1_S3_PKT4_S3_S6_S3_S6_S3_S6_PS1_21rocsparse_index_base_S8_S8_S8_bb.has_recursion, 0
	.set _ZN9rocsparseL35csrgemm_symbolic_fill_block_per_rowILj1024ELj64ELj32768ELj137ELj64EliEEvT5_PKS1_S3_PKT4_S3_S6_S3_S6_S3_S6_PS1_21rocsparse_index_base_S8_S8_S8_bb.has_indirect_call, 0
	.section	.AMDGPU.csdata,"",@progbits
; Kernel info:
; codeLenInByte = 2948
; TotalNumSgprs: 44
; NumVgprs: 18
; ScratchSize: 0
; MemoryBound: 0
; FloatMode: 240
; IeeeMode: 1
; LDSByteSize: 0 bytes/workgroup (compile time only)
; SGPRBlocks: 0
; VGPRBlocks: 1
; NumSGPRsForWavesPerEU: 44
; NumVGPRsForWavesPerEU: 18
; NamedBarCnt: 0
; Occupancy: 16
; WaveLimiterHint : 1
; COMPUTE_PGM_RSRC2:SCRATCH_EN: 0
; COMPUTE_PGM_RSRC2:USER_SGPR: 2
; COMPUTE_PGM_RSRC2:TRAP_HANDLER: 0
; COMPUTE_PGM_RSRC2:TGID_X_EN: 1
; COMPUTE_PGM_RSRC2:TGID_Y_EN: 0
; COMPUTE_PGM_RSRC2:TGID_Z_EN: 0
; COMPUTE_PGM_RSRC2:TIDIG_COMP_CNT: 0
	.section	.text._ZN9rocsparseL45csrgemm_symbolic_fill_block_per_row_multipassILj512ELj16ELj2048ELj32EliEEvT4_PKS1_S3_PKT3_S3_S6_S3_S6_S3_S6_PS1_PS4_21rocsparse_index_base_S9_S9_S9_bb,"axG",@progbits,_ZN9rocsparseL45csrgemm_symbolic_fill_block_per_row_multipassILj512ELj16ELj2048ELj32EliEEvT4_PKS1_S3_PKT3_S3_S6_S3_S6_S3_S6_PS1_PS4_21rocsparse_index_base_S9_S9_S9_bb,comdat
	.globl	_ZN9rocsparseL45csrgemm_symbolic_fill_block_per_row_multipassILj512ELj16ELj2048ELj32EliEEvT4_PKS1_S3_PKT3_S3_S6_S3_S6_S3_S6_PS1_PS4_21rocsparse_index_base_S9_S9_S9_bb ; -- Begin function _ZN9rocsparseL45csrgemm_symbolic_fill_block_per_row_multipassILj512ELj16ELj2048ELj32EliEEvT4_PKS1_S3_PKT3_S3_S6_S3_S6_S3_S6_PS1_PS4_21rocsparse_index_base_S9_S9_S9_bb
	.p2align	8
	.type	_ZN9rocsparseL45csrgemm_symbolic_fill_block_per_row_multipassILj512ELj16ELj2048ELj32EliEEvT4_PKS1_S3_PKT3_S3_S6_S3_S6_S3_S6_PS1_PS4_21rocsparse_index_base_S9_S9_S9_bb,@function
_ZN9rocsparseL45csrgemm_symbolic_fill_block_per_row_multipassILj512ELj16ELj2048ELj32EliEEvT4_PKS1_S3_PKT3_S3_S6_S3_S6_S3_S6_PS1_PS4_21rocsparse_index_base_S9_S9_S9_bb: ; @_ZN9rocsparseL45csrgemm_symbolic_fill_block_per_row_multipassILj512ELj16ELj2048ELj32EliEEvT4_PKS1_S3_PKT3_S3_S6_S3_S6_S3_S6_PS1_PS4_21rocsparse_index_base_S9_S9_S9_bb
; %bb.0:
	s_clause 0x2
	s_load_b128 s[12:15], s[0:1], 0x8
	s_load_b32 s10, s[0:1], 0x70
	s_load_b64 s[6:7], s[0:1], 0x18
	s_getreg_b32 s5, hwreg(HW_REG_IB_STS2, 6, 4)
	s_mov_b32 s9, 0
	s_mov_b64 s[22:23], 0
	s_wait_kmcnt 0x0
	s_load_b32 s2, s[12:13], 0x0
	s_load_b128 s[44:47], s[0:1], 0x60
	s_bitcmp1_b32 s10, 0
	s_cselect_b32 s18, -1, 0
	s_bfe_u32 s3, ttmp6, 0x4000c
	s_and_b32 s4, ttmp6, 15
	s_add_co_i32 s3, s3, 1
	s_delay_alu instid0(SALU_CYCLE_1) | instskip(NEXT) | instid1(SALU_CYCLE_1)
	s_mul_i32 s3, ttmp9, s3
	s_add_co_i32 s4, s4, s3
	s_cmp_eq_u32 s5, 0
	s_cselect_b32 s3, ttmp9, s4
	s_mov_b64 s[4:5], 0
	s_wait_kmcnt 0x0
	s_add_co_i32 s2, s2, s3
	s_bitcmp0_b32 s10, 0
	s_load_b32 s2, s[14:15], s2 offset:0x0 scale_offset
	s_cbranch_scc0 .LBB44_3
; %bb.1:
	s_and_not1_b32 vcc_lo, exec_lo, s18
	s_cbranch_vccz .LBB44_4
.LBB44_2:
	s_load_b32 s33, s[0:1], 0x0
	s_wait_kmcnt 0x0
	s_cmp_lt_i32 s33, 1
	s_cbranch_scc0 .LBB44_5
	s_branch .LBB44_64
.LBB44_3:
	s_wait_kmcnt 0x0
	s_ashr_i32 s3, s2, 31
	s_mov_b32 s8, s44
	s_lshl_b64 s[4:5], s[2:3], 3
	s_delay_alu instid0(SALU_CYCLE_1)
	s_add_nc_u64 s[4:5], s[6:7], s[4:5]
	s_load_b64 s[4:5], s[4:5], 0x0
	s_wait_kmcnt 0x0
	s_sub_nc_u64 s[4:5], s[4:5], s[8:9]
	s_and_not1_b32 vcc_lo, exec_lo, s18
	s_cbranch_vccnz .LBB44_2
.LBB44_4:
	s_wait_kmcnt 0x0
	s_ashr_i32 s3, s2, 31
	s_delay_alu instid0(SALU_CYCLE_1) | instskip(NEXT) | instid1(SALU_CYCLE_1)
	s_lshl_b64 s[8:9], s[2:3], 3
	s_add_nc_u64 s[6:7], s[6:7], s[8:9]
	s_mov_b32 s9, 0
	s_load_b64 s[6:7], s[6:7], 0x8
	s_mov_b32 s8, s44
	s_wait_kmcnt 0x0
	s_sub_nc_u64 s[22:23], s[6:7], s[8:9]
	s_load_b32 s33, s[0:1], 0x0
	s_wait_kmcnt 0x0
	s_cmp_lt_i32 s33, 1
	s_cbranch_scc1 .LBB44_64
.LBB44_5:
	s_clause 0x1
	s_load_b256 s[24:31], s[0:1], 0x40
	s_load_b256 s[36:43], s[0:1], 0x20
	v_mbcnt_lo_u32_b32 v8, -1, 0
	s_bitcmp1_b32 s10, 8
	v_dual_lshrrev_b32 v2, 4, v0 :: v_dual_bitop2_b32 v1, 15, v0 bitop3:0x40
	v_dual_mov_b32 v3, 0 :: v_dual_lshrrev_b32 v10, 3, v0
	s_cselect_b32 s50, -1, 0
	s_ashr_i32 s3, s2, 31
	v_xor_b32_e32 v13, 1, v8
	v_xor_b32_e32 v9, 8, v8
	s_lshl_b64 s[20:21], s[2:3], 3
	v_add_nc_u64_e32 v[4:5], s[4:5], v[2:3]
	v_mov_b32_e32 v2, v1
	s_wait_xcnt 0x0
	v_cmp_eq_u32_e64 s1, 15, v1
	v_mov_b32_e32 v1, v3
	v_cmp_gt_i32_e32 vcc_lo, 32, v9
	v_xor_b32_e32 v11, 4, v8
	s_mov_b32 s35, 0
	s_wait_kmcnt 0x0
	s_add_nc_u64 s[2:3], s[26:27], s[20:21]
	s_mov_b32 s48, s47
	s_load_b64 s[2:3], s[2:3], 0x0
	s_mov_b32 s49, s35
	s_mov_b32 s34, s46
	v_sub_nc_u64_e64 v[6:7], v[0:1], s[48:49]
	v_cndmask_b32_e32 v1, v8, v9, vcc_lo
	v_cmp_gt_i32_e32 vcc_lo, 32, v11
	v_xor_b32_e32 v12, 2, v8
	v_and_b32_e32 v28, 60, v10
	v_cmp_eq_u32_e64 s0, 0, v0
	v_dual_lshlrev_b32 v1, 2, v1 :: v_dual_cndmask_b32 v9, v8, v11, vcc_lo
	s_delay_alu instid0(VALU_DEP_4)
	v_cmp_gt_i32_e32 vcc_lo, 32, v12
	v_xor_b32_e32 v14, 31, v8
	v_cmp_gt_u32_e64 s4, 64, v0
	v_cmp_gt_u32_e64 s5, 0x60, v0
	v_dual_lshlrev_b32 v9, 2, v9 :: v_dual_cndmask_b32 v11, v8, v12, vcc_lo
	v_cmp_gt_i32_e32 vcc_lo, 32, v13
	v_cmp_gt_u32_e64 s6, 0x80, v0
	v_cmp_gt_u32_e64 s7, 0xa0, v0
	s_wait_kmcnt 0x0
	s_sub_nc_u64 s[26:27], s[2:3], s[34:35]
	v_cmp_eq_u32_e64 s2, 0x1ff, v0
	v_cndmask_b32_e32 v8, v8, v13, vcc_lo
	v_cmp_gt_i64_e32 vcc_lo, s[22:23], v[4:5]
	v_lshlrev_b32_e32 v26, 2, v11
	v_mov_b64_e32 v[10:11], s[26:27]
	v_cmp_gt_u32_e64 s3, 32, v0
	v_lshlrev_b32_e32 v27, 2, v8
	v_lshrrev_b32_e64 v8, v14, -1
	v_cmp_gt_u32_e64 s8, 0xc0, v0
	v_cmp_gt_u32_e64 s9, 0xe0, v0
	;; [unrolled: 1-line block ×10, first 2 shown]
	v_dual_mov_b32 v31, 0x800 :: v_dual_mov_b32 v30, v3
	v_mov_b32_e32 v29, 1
	s_mov_b32 s34, s45
	s_add_nc_u64 s[26:27], s[42:43], s[20:21]
	s_and_b32 s42, s18, vcc_lo
	s_mov_b32 s43, -1
	s_branch .LBB44_7
.LBB44_6:                               ;   in Loop: Header=BB44_7 Depth=1
	s_or_b32 exec_lo, exec_lo, s18
	ds_load_b32 v30, v3 offset:10240
	s_wait_dscnt 0x0
	s_barrier_signal -1
	s_barrier_wait -1
	v_cmp_le_i32_e32 vcc_lo, s33, v30
	v_add_nc_u32_e32 v31, 0x800, v30
	s_cbranch_vccnz .LBB44_64
.LBB44_7:                               ; =>This Loop Header: Depth=1
                                        ;     Child Loop BB44_16 Depth 2
                                        ;       Child Loop BB44_22 Depth 3
                                        ;     Child Loop BB44_43 Depth 2
                                        ;     Child Loop BB44_55 Depth 2
	;; [unrolled: 1-line block ×3, first 2 shown]
	s_and_saveexec_b32 s18, s43
	s_cbranch_execnz .LBB44_34
; %bb.8:                                ;   in Loop: Header=BB44_7 Depth=1
	s_or_b32 exec_lo, exec_lo, s18
	s_and_saveexec_b32 s18, s43
	s_cbranch_execnz .LBB44_35
.LBB44_9:                               ;   in Loop: Header=BB44_7 Depth=1
	s_or_b32 exec_lo, exec_lo, s18
	s_and_saveexec_b32 s18, s43
	s_cbranch_execnz .LBB44_36
.LBB44_10:                              ;   in Loop: Header=BB44_7 Depth=1
	s_or_b32 exec_lo, exec_lo, s18
	s_and_saveexec_b32 s18, s43
	s_cbranch_execnz .LBB44_37
.LBB44_11:                              ;   in Loop: Header=BB44_7 Depth=1
	s_or_b32 exec_lo, exec_lo, s18
	s_and_saveexec_b32 s18, s0
.LBB44_12:                              ;   in Loop: Header=BB44_7 Depth=1
	v_mov_b32_e32 v12, s33
	ds_store_b32 v3, v12 offset:10240
.LBB44_13:                              ;   in Loop: Header=BB44_7 Depth=1
	s_or_b32 exec_lo, exec_lo, s18
	v_mov_b32_e32 v32, s33
	s_wait_dscnt 0x0
	s_barrier_signal -1
	s_barrier_wait -1
	s_and_saveexec_b32 s21, s42
	s_cbranch_execz .LBB44_39
; %bb.14:                               ;   in Loop: Header=BB44_7 Depth=1
	v_mov_b64_e32 v[12:13], v[4:5]
	v_cmp_ne_u32_e64 s18, 0, v30
	v_mov_b32_e32 v32, s33
	s_mov_b32 s51, 0
	s_branch .LBB44_16
.LBB44_15:                              ;   in Loop: Header=BB44_16 Depth=2
	s_wait_xcnt 0x0
	s_or_b32 exec_lo, exec_lo, s19
	v_add_nc_u64_e32 v[12:13], 32, v[12:13]
	s_delay_alu instid0(VALU_DEP_1) | instskip(SKIP_1) | instid1(SALU_CYCLE_1)
	v_cmp_le_i64_e32 vcc_lo, s[22:23], v[12:13]
	s_or_b32 s51, vcc_lo, s51
	s_and_not1_b32 exec_lo, exec_lo, s51
	s_cbranch_execz .LBB44_38
.LBB44_16:                              ;   Parent Loop BB44_7 Depth=1
                                        ; =>  This Loop Header: Depth=2
                                        ;       Child Loop BB44_22 Depth 3
	v_lshl_add_u64 v[14:15], v[12:13], 2, s[36:37]
	s_and_b32 vcc_lo, exec_lo, s18
	global_load_b32 v14, v[14:15], off
	s_wait_loadcnt 0x0
	v_subrev_nc_u32_e32 v16, s44, v14
	s_wait_xcnt 0x0
	v_lshl_add_u64 v[14:15], v[12:13], 3, s[30:31]
	s_delay_alu instid0(VALU_DEP_2)
	v_ashrrev_i32_e32 v17, 31, v16
	s_cbranch_vccz .LBB44_33
; %bb.17:                               ;   in Loop: Header=BB44_16 Depth=2
	global_load_b64 v[20:21], v[14:15], off
	s_cbranch_execnz .LBB44_19
.LBB44_18:                              ;   in Loop: Header=BB44_16 Depth=2
	s_wait_dscnt 0x0
	global_load_b64 v[18:19], v16, s[38:39] scale_offset
	s_wait_loadcnt 0x0
	v_sub_nc_u64_e64 v[20:21], v[18:19], s[34:35]
.LBB44_19:                              ;   in Loop: Header=BB44_16 Depth=2
	s_wait_xcnt 0x0
	v_lshl_add_u64 v[16:17], v[16:17], 3, s[38:39]
	s_mov_b32 s52, exec_lo
	global_load_b64 v[16:17], v[16:17], off offset:8
	s_wait_loadcnt_dscnt 0x0
	v_sub_nc_u64_e64 v[18:19], v[16:17], s[34:35]
	s_wait_xcnt 0x0
	v_add_nc_u64_e32 v[16:17], v[20:21], v[2:3]
	s_delay_alu instid0(VALU_DEP_1)
	v_cmpx_lt_i64_e64 v[16:17], v[18:19]
	s_cbranch_execz .LBB44_31
; %bb.20:                               ;   in Loop: Header=BB44_16 Depth=2
	v_mov_b64_e32 v[24:25], v[16:17]
	v_lshl_add_u64 v[20:21], v[16:17], 2, s[40:41]
	s_mov_b32 s54, 0
                                        ; implicit-def: $sgpr53
                                        ; implicit-def: $sgpr55
	s_branch .LBB44_22
.LBB44_21:                              ;   in Loop: Header=BB44_22 Depth=3
	s_or_b32 exec_lo, exec_lo, s56
	s_delay_alu instid0(SALU_CYCLE_1) | instskip(NEXT) | instid1(SALU_CYCLE_1)
	s_and_b32 s19, exec_lo, s20
	s_or_b32 s54, s19, s54
	s_and_not1_b32 s19, s53, exec_lo
	s_and_b32 s20, s55, exec_lo
	s_delay_alu instid0(SALU_CYCLE_1)
	s_or_b32 s53, s19, s20
	s_and_not1_b32 exec_lo, exec_lo, s54
	s_cbranch_execz .LBB44_28
.LBB44_22:                              ;   Parent Loop BB44_7 Depth=1
                                        ;     Parent Loop BB44_16 Depth=2
                                        ; =>    This Inner Loop Header: Depth=3
	global_load_b32 v22, v[20:21], off
	s_wait_loadcnt 0x0
	v_subrev_nc_u32_e32 v33, s45, v22
	v_mov_b64_e32 v[22:23], v[24:25]
	s_delay_alu instid0(VALU_DEP_2)
	v_cmp_lt_i32_e64 s19, v33, v30
	v_cmp_ge_i32_e64 s20, v33, v31
	v_cmp_lt_i32_e32 vcc_lo, v33, v31
	s_or_b32 s20, s19, s20
	s_mov_b32 s19, 0
	s_wait_xcnt 0x0
	s_and_saveexec_b32 s56, s20
	s_delay_alu instid0(SALU_CYCLE_1)
	s_xor_b32 s20, exec_lo, s56
; %bb.23:                               ;   in Loop: Header=BB44_22 Depth=3
	s_and_b32 s19, vcc_lo, exec_lo
; %bb.24:                               ;   in Loop: Header=BB44_22 Depth=3
	s_and_not1_saveexec_b32 s20, s20
; %bb.25:                               ;   in Loop: Header=BB44_22 Depth=3
	v_sub_nc_u32_e32 v24, v33, v30
	s_or_b32 s19, s19, exec_lo
	ds_store_b8 v24, v29 offset:8192
; %bb.26:                               ;   in Loop: Header=BB44_22 Depth=3
	s_or_b32 exec_lo, exec_lo, s20
	s_mov_b32 s20, -1
	s_or_b32 s55, s55, exec_lo
                                        ; implicit-def: $vgpr24_vgpr25
	s_and_saveexec_b32 s56, s19
	s_cbranch_execz .LBB44_21
; %bb.27:                               ;   in Loop: Header=BB44_22 Depth=3
	v_add_nc_u64_e32 v[24:25], 16, v[22:23]
	v_add_nc_u64_e32 v[20:21], 64, v[20:21]
	s_and_not1_b32 s55, s55, exec_lo
	s_delay_alu instid0(VALU_DEP_2)
	v_cmp_ge_i64_e32 vcc_lo, v[24:25], v[18:19]
	s_or_not1_b32 s20, vcc_lo, exec_lo
	s_branch .LBB44_21
.LBB44_28:                              ;   in Loop: Header=BB44_16 Depth=2
	s_or_b32 exec_lo, exec_lo, s54
	s_and_saveexec_b32 s19, s53
	s_delay_alu instid0(SALU_CYCLE_1)
	s_xor_b32 s19, exec_lo, s19
; %bb.29:                               ;   in Loop: Header=BB44_16 Depth=2
	v_mov_b64_e32 v[16:17], v[22:23]
	v_min_i32_e32 v32, v33, v32
; %bb.30:                               ;   in Loop: Header=BB44_16 Depth=2
	s_or_b32 exec_lo, exec_lo, s19
.LBB44_31:                              ;   in Loop: Header=BB44_16 Depth=2
	s_delay_alu instid0(SALU_CYCLE_1)
	s_or_b32 exec_lo, exec_lo, s52
	ds_bpermute_b32 v18, v1, v16
	ds_bpermute_b32 v19, v1, v17
	s_wait_dscnt 0x0
	v_min_i64 v[16:17], v[18:19], v[16:17]
	ds_bpermute_b32 v18, v9, v16
	ds_bpermute_b32 v19, v9, v17
	s_wait_dscnt 0x0
	v_min_i64 v[16:17], v[18:19], v[16:17]
	;; [unrolled: 4-line block ×3, first 2 shown]
	ds_bpermute_b32 v18, v27, v16
	ds_bpermute_b32 v19, v27, v17
	s_and_saveexec_b32 s19, s1
	s_cbranch_execz .LBB44_15
; %bb.32:                               ;   in Loop: Header=BB44_16 Depth=2
	s_wait_dscnt 0x0
	v_min_i64 v[16:17], v[18:19], v[16:17]
	global_store_b64 v[14:15], v[16:17], off
	s_branch .LBB44_15
.LBB44_33:                              ;   in Loop: Header=BB44_16 Depth=2
                                        ; implicit-def: $vgpr20_vgpr21
	s_branch .LBB44_18
.LBB44_34:                              ;   in Loop: Header=BB44_7 Depth=1
	ds_store_b8 v0, v3 offset:8192
	s_or_b32 exec_lo, exec_lo, s18
	s_and_saveexec_b32 s18, s43
	s_cbranch_execz .LBB44_9
.LBB44_35:                              ;   in Loop: Header=BB44_7 Depth=1
	ds_store_b8 v0, v3 offset:8704
	s_or_b32 exec_lo, exec_lo, s18
	s_and_saveexec_b32 s18, s43
	s_cbranch_execz .LBB44_10
.LBB44_36:                              ;   in Loop: Header=BB44_7 Depth=1
	ds_store_b8 v0, v3 offset:9216
	s_or_b32 exec_lo, exec_lo, s18
	s_and_saveexec_b32 s18, s43
	s_cbranch_execz .LBB44_11
.LBB44_37:                              ;   in Loop: Header=BB44_7 Depth=1
	ds_store_b8 v0, v3 offset:9728
	s_or_b32 exec_lo, exec_lo, s18
	s_and_saveexec_b32 s18, s0
	s_cbranch_execnz .LBB44_12
	s_branch .LBB44_13
.LBB44_38:                              ;   in Loop: Header=BB44_7 Depth=1
	s_or_b32 exec_lo, exec_lo, s51
.LBB44_39:                              ;   in Loop: Header=BB44_7 Depth=1
	s_delay_alu instid0(SALU_CYCLE_1) | instskip(NEXT) | instid1(SALU_CYCLE_1)
	s_or_b32 exec_lo, exec_lo, s21
	s_and_not1_b32 vcc_lo, exec_lo, s50
	s_cbranch_vccnz .LBB44_53
; %bb.40:                               ;   in Loop: Header=BB44_7 Depth=1
	s_load_b128 s[52:55], s[26:27], 0x0
	s_mov_b32 s51, exec_lo
	s_wait_kmcnt 0x0
	v_add_nc_u64_e32 v[12:13], s[52:53], v[6:7]
	s_sub_nc_u64 s[20:21], s[54:55], s[48:49]
	s_delay_alu instid0(VALU_DEP_1) | instid1(SALU_CYCLE_1)
	v_cmpx_gt_i64_e64 s[20:21], v[12:13]
	s_cbranch_execz .LBB44_52
; %bb.41:                               ;   in Loop: Header=BB44_7 Depth=1
	v_lshl_add_u64 v[14:15], v[12:13], 2, s[24:25]
	s_mov_b32 s52, 0
                                        ; implicit-def: $sgpr53
                                        ; implicit-def: $sgpr54
	s_branch .LBB44_43
.LBB44_42:                              ;   in Loop: Header=BB44_43 Depth=2
	s_or_b32 exec_lo, exec_lo, s55
	s_delay_alu instid0(SALU_CYCLE_1) | instskip(NEXT) | instid1(SALU_CYCLE_1)
	s_and_b32 s18, exec_lo, s19
	s_or_b32 s52, s18, s52
	s_and_not1_b32 s18, s53, exec_lo
	s_and_b32 s19, s54, exec_lo
	s_delay_alu instid0(SALU_CYCLE_1)
	s_or_b32 s53, s18, s19
	s_and_not1_b32 exec_lo, exec_lo, s52
	s_cbranch_execz .LBB44_49
.LBB44_43:                              ;   Parent Loop BB44_7 Depth=1
                                        ; =>  This Inner Loop Header: Depth=2
	global_load_b32 v16, v[14:15], off
	s_wait_loadcnt 0x0
	v_subrev_nc_u32_e32 v16, s47, v16
	s_delay_alu instid0(VALU_DEP_1)
	v_cmp_lt_i32_e64 s18, v16, v30
	v_cmp_ge_i32_e64 s19, v16, v31
	v_cmp_lt_i32_e32 vcc_lo, v16, v31
	s_or_b32 s19, s18, s19
	s_mov_b32 s18, 0
	s_wait_xcnt 0x0
	s_and_saveexec_b32 s55, s19
	s_delay_alu instid0(SALU_CYCLE_1)
	s_xor_b32 s19, exec_lo, s55
; %bb.44:                               ;   in Loop: Header=BB44_43 Depth=2
	s_and_b32 s18, vcc_lo, exec_lo
; %bb.45:                               ;   in Loop: Header=BB44_43 Depth=2
	s_and_not1_saveexec_b32 s19, s19
; %bb.46:                               ;   in Loop: Header=BB44_43 Depth=2
	v_sub_nc_u32_e32 v17, v16, v30
	s_or_b32 s18, s18, exec_lo
	ds_store_b8 v17, v29 offset:8192
; %bb.47:                               ;   in Loop: Header=BB44_43 Depth=2
	s_or_b32 exec_lo, exec_lo, s19
	s_mov_b32 s19, -1
	s_or_b32 s54, s54, exec_lo
	s_and_saveexec_b32 s55, s18
	s_cbranch_execz .LBB44_42
; %bb.48:                               ;   in Loop: Header=BB44_43 Depth=2
	v_add_nc_u64_e32 v[12:13], 0x200, v[12:13]
	v_add_nc_u64_e32 v[14:15], 0x800, v[14:15]
	s_and_not1_b32 s54, s54, exec_lo
	s_delay_alu instid0(VALU_DEP_2)
	v_cmp_le_i64_e32 vcc_lo, s[20:21], v[12:13]
	s_or_not1_b32 s19, vcc_lo, exec_lo
	s_branch .LBB44_42
.LBB44_49:                              ;   in Loop: Header=BB44_7 Depth=1
	s_or_b32 exec_lo, exec_lo, s52
	s_and_saveexec_b32 s18, s53
	s_delay_alu instid0(SALU_CYCLE_1)
	s_xor_b32 s18, exec_lo, s18
; %bb.50:                               ;   in Loop: Header=BB44_7 Depth=1
	v_min_i32_e32 v32, v16, v32
; %bb.51:                               ;   in Loop: Header=BB44_7 Depth=1
	s_or_b32 exec_lo, exec_lo, s18
.LBB44_52:                              ;   in Loop: Header=BB44_7 Depth=1
	s_delay_alu instid0(SALU_CYCLE_1)
	s_or_b32 exec_lo, exec_lo, s51
.LBB44_53:                              ;   in Loop: Header=BB44_7 Depth=1
	ds_bpermute_b32 v12, v1, v32
	s_wait_dscnt 0x0
	v_min_i32_e32 v12, v12, v32
	ds_bpermute_b32 v13, v9, v12
	s_wait_dscnt 0x0
	v_min_i32_e32 v12, v13, v12
	;; [unrolled: 3-line block ×3, first 2 shown]
	ds_bpermute_b32 v13, v27, v12
	s_and_saveexec_b32 s18, s1
	s_cbranch_execz .LBB44_58
; %bb.54:                               ;   in Loop: Header=BB44_7 Depth=1
	s_wait_dscnt 0x0
	v_min_i32_e32 v12, v13, v12
	s_mov_b32 s20, exec_lo
	s_brev_b32 s19, -2
.LBB44_55:                              ;   Parent Loop BB44_7 Depth=1
                                        ; =>  This Inner Loop Header: Depth=2
	s_ctz_i32_b32 s21, s20
	s_delay_alu instid0(VALU_DEP_1) | instid1(SALU_CYCLE_1)
	v_readlane_b32 s51, v12, s21
	s_lshl_b32 s21, 1, s21
	s_delay_alu instid0(SALU_CYCLE_1)
	s_and_not1_b32 s20, s20, s21
	s_min_i32 s19, s19, s51
	s_cmp_lg_u32 s20, 0
	s_cbranch_scc1 .LBB44_55
; %bb.56:                               ;   in Loop: Header=BB44_7 Depth=1
	v_mbcnt_lo_u32_b32 v12, exec_lo, 0
	s_mov_b32 s20, exec_lo
	s_delay_alu instid0(VALU_DEP_1)
	v_cmpx_eq_u32_e32 0, v12
	s_xor_b32 s20, exec_lo, s20
; %bb.57:                               ;   in Loop: Header=BB44_7 Depth=1
	v_mov_b32_e32 v12, s19
	ds_min_i32 v3, v12 offset:10240
.LBB44_58:                              ;   in Loop: Header=BB44_7 Depth=1
	s_or_b32 exec_lo, exec_lo, s18
	v_dual_mov_b32 v15, v0 :: v_dual_add_nc_u32 v14, s46, v30
	s_mov_b32 s18, 0
	s_wait_storecnt_dscnt 0x0
	s_barrier_signal -1
	s_barrier_wait -1
	s_branch .LBB44_60
.LBB44_59:                              ;   in Loop: Header=BB44_60 Depth=2
	s_or_b32 exec_lo, exec_lo, s19
	s_wait_storecnt_dscnt 0x0
	s_barrier_signal -1
	s_barrier_wait -1
	ds_load_b32 v12, v3 offset:60
	v_add_nc_u32_e32 v16, 0x200, v15
	v_cmp_lt_u32_e32 vcc_lo, 0x5ff, v15
	s_delay_alu instid0(VALU_DEP_2) | instskip(SKIP_3) | instid1(VALU_DEP_1)
	v_mov_b32_e32 v15, v16
	s_or_b32 s18, vcc_lo, s18
	s_wait_dscnt 0x0
	v_ashrrev_i32_e32 v13, 31, v12
	v_add_nc_u64_e32 v[10:11], v[10:11], v[12:13]
	s_and_not1_b32 exec_lo, exec_lo, s18
	s_cbranch_execz .LBB44_6
.LBB44_60:                              ;   Parent Loop BB44_7 Depth=1
                                        ; =>  This Inner Loop Header: Depth=2
	ds_load_u8 v12, v15 offset:8192
	s_wait_dscnt 0x0
	s_barrier_signal -1
	s_barrier_wait -1
	v_cmp_ne_u16_e32 vcc_lo, 0, v12
	s_bcnt1_i32_b32 s19, vcc_lo
	s_delay_alu instid0(SALU_CYCLE_1)
	v_mov_b32_e32 v13, s19
	s_mov_b32 s19, exec_lo
	ds_store_b32 v28, v13
	s_wait_dscnt 0x0
	s_barrier_signal -1
	s_barrier_wait -1
	ds_load_b128 v[16:19], v3
	ds_load_b128 v[20:23], v3 offset:16
	v_and_b32_e32 v13, vcc_lo, v8
	ds_load_b128 v[30:33], v3 offset:32
	s_wait_dscnt 0x2
	v_cndmask_b32_e64 v16, v16, 0, s3
	v_cndmask_b32_e64 v24, v17, 0, s4
	;; [unrolled: 1-line block ×4, first 2 shown]
	s_wait_dscnt 0x1
	v_cndmask_b32_e64 v20, v20, 0, s7
	v_bcnt_u32_b32 v13, v13, v16
	ds_load_b96 v[16:18], v3 offset:48
	v_cndmask_b32_e64 v21, v21, 0, s8
	v_cndmask_b32_e64 v22, v22, 0, s9
	v_add3_u32 v13, v13, v24, v25
	s_delay_alu instid0(VALU_DEP_1) | instskip(SKIP_3) | instid1(VALU_DEP_3)
	v_add3_u32 v13, v13, v19, v20
	v_cndmask_b32_e64 v19, v23, 0, s10
	s_wait_dscnt 0x1
	v_cndmask_b32_e64 v20, v30, 0, s11
	v_add3_u32 v13, v13, v21, v22
	v_cndmask_b32_e64 v21, v31, 0, s12
	v_cndmask_b32_e64 v22, v32, 0, s13
	s_delay_alu instid0(VALU_DEP_3)
	v_add3_u32 v13, v13, v19, v20
	v_cndmask_b32_e64 v19, v33, 0, s14
	s_wait_dscnt 0x0
	v_cndmask_b32_e64 v16, v16, 0, s15
	v_cndmask_b32_e64 v17, v17, 0, s16
	;; [unrolled: 1-line block ×3, first 2 shown]
	v_add3_u32 v13, v13, v21, v22
	s_delay_alu instid0(VALU_DEP_1) | instskip(SKIP_1) | instid1(VALU_DEP_2)
	v_add3_u32 v13, v13, v19, v16
	v_and_b32_e32 v16, 1, v12
	v_add3_u32 v12, v13, v17, v18
	s_delay_alu instid0(VALU_DEP_2)
	v_cmpx_eq_u32_e32 1, v16
	s_cbranch_execz .LBB44_62
; %bb.61:                               ;   in Loop: Header=BB44_60 Depth=2
	v_lshl_add_u64 v[16:17], v[10:11], 2, s[28:29]
	s_delay_alu instid0(VALU_DEP_3) | instskip(NEXT) | instid1(VALU_DEP_1)
	v_dual_ashrrev_i32 v13, 31, v12 :: v_dual_add_nc_u32 v18, v14, v15
	v_lshl_add_u64 v[16:17], v[12:13], 2, v[16:17]
	global_store_b32 v[16:17], v18, off offset:-4
.LBB44_62:                              ;   in Loop: Header=BB44_60 Depth=2
	s_wait_xcnt 0x0
	s_or_b32 exec_lo, exec_lo, s19
	s_and_saveexec_b32 s19, s2
	s_cbranch_execz .LBB44_59
; %bb.63:                               ;   in Loop: Header=BB44_60 Depth=2
	ds_store_b32 v3, v12 offset:60
	s_branch .LBB44_59
.LBB44_64:
	s_endpgm
	.section	.rodata,"a",@progbits
	.p2align	6, 0x0
	.amdhsa_kernel _ZN9rocsparseL45csrgemm_symbolic_fill_block_per_row_multipassILj512ELj16ELj2048ELj32EliEEvT4_PKS1_S3_PKT3_S3_S6_S3_S6_S3_S6_PS1_PS4_21rocsparse_index_base_S9_S9_S9_bb
		.amdhsa_group_segment_fixed_size 10244
		.amdhsa_private_segment_fixed_size 0
		.amdhsa_kernarg_size 116
		.amdhsa_user_sgpr_count 2
		.amdhsa_user_sgpr_dispatch_ptr 0
		.amdhsa_user_sgpr_queue_ptr 0
		.amdhsa_user_sgpr_kernarg_segment_ptr 1
		.amdhsa_user_sgpr_dispatch_id 0
		.amdhsa_user_sgpr_kernarg_preload_length 0
		.amdhsa_user_sgpr_kernarg_preload_offset 0
		.amdhsa_user_sgpr_private_segment_size 0
		.amdhsa_wavefront_size32 1
		.amdhsa_uses_dynamic_stack 0
		.amdhsa_enable_private_segment 0
		.amdhsa_system_sgpr_workgroup_id_x 1
		.amdhsa_system_sgpr_workgroup_id_y 0
		.amdhsa_system_sgpr_workgroup_id_z 0
		.amdhsa_system_sgpr_workgroup_info 0
		.amdhsa_system_vgpr_workitem_id 0
		.amdhsa_next_free_vgpr 34
		.amdhsa_next_free_sgpr 57
		.amdhsa_named_barrier_count 0
		.amdhsa_reserve_vcc 1
		.amdhsa_float_round_mode_32 0
		.amdhsa_float_round_mode_16_64 0
		.amdhsa_float_denorm_mode_32 3
		.amdhsa_float_denorm_mode_16_64 3
		.amdhsa_fp16_overflow 0
		.amdhsa_memory_ordered 1
		.amdhsa_forward_progress 1
		.amdhsa_inst_pref_size 20
		.amdhsa_round_robin_scheduling 0
		.amdhsa_exception_fp_ieee_invalid_op 0
		.amdhsa_exception_fp_denorm_src 0
		.amdhsa_exception_fp_ieee_div_zero 0
		.amdhsa_exception_fp_ieee_overflow 0
		.amdhsa_exception_fp_ieee_underflow 0
		.amdhsa_exception_fp_ieee_inexact 0
		.amdhsa_exception_int_div_zero 0
	.end_amdhsa_kernel
	.section	.text._ZN9rocsparseL45csrgemm_symbolic_fill_block_per_row_multipassILj512ELj16ELj2048ELj32EliEEvT4_PKS1_S3_PKT3_S3_S6_S3_S6_S3_S6_PS1_PS4_21rocsparse_index_base_S9_S9_S9_bb,"axG",@progbits,_ZN9rocsparseL45csrgemm_symbolic_fill_block_per_row_multipassILj512ELj16ELj2048ELj32EliEEvT4_PKS1_S3_PKT3_S3_S6_S3_S6_S3_S6_PS1_PS4_21rocsparse_index_base_S9_S9_S9_bb,comdat
.Lfunc_end44:
	.size	_ZN9rocsparseL45csrgemm_symbolic_fill_block_per_row_multipassILj512ELj16ELj2048ELj32EliEEvT4_PKS1_S3_PKT3_S3_S6_S3_S6_S3_S6_PS1_PS4_21rocsparse_index_base_S9_S9_S9_bb, .Lfunc_end44-_ZN9rocsparseL45csrgemm_symbolic_fill_block_per_row_multipassILj512ELj16ELj2048ELj32EliEEvT4_PKS1_S3_PKT3_S3_S6_S3_S6_S3_S6_PS1_PS4_21rocsparse_index_base_S9_S9_S9_bb
                                        ; -- End function
	.set _ZN9rocsparseL45csrgemm_symbolic_fill_block_per_row_multipassILj512ELj16ELj2048ELj32EliEEvT4_PKS1_S3_PKT3_S3_S6_S3_S6_S3_S6_PS1_PS4_21rocsparse_index_base_S9_S9_S9_bb.num_vgpr, 34
	.set _ZN9rocsparseL45csrgemm_symbolic_fill_block_per_row_multipassILj512ELj16ELj2048ELj32EliEEvT4_PKS1_S3_PKT3_S3_S6_S3_S6_S3_S6_PS1_PS4_21rocsparse_index_base_S9_S9_S9_bb.num_agpr, 0
	.set _ZN9rocsparseL45csrgemm_symbolic_fill_block_per_row_multipassILj512ELj16ELj2048ELj32EliEEvT4_PKS1_S3_PKT3_S3_S6_S3_S6_S3_S6_PS1_PS4_21rocsparse_index_base_S9_S9_S9_bb.numbered_sgpr, 57
	.set _ZN9rocsparseL45csrgemm_symbolic_fill_block_per_row_multipassILj512ELj16ELj2048ELj32EliEEvT4_PKS1_S3_PKT3_S3_S6_S3_S6_S3_S6_PS1_PS4_21rocsparse_index_base_S9_S9_S9_bb.num_named_barrier, 0
	.set _ZN9rocsparseL45csrgemm_symbolic_fill_block_per_row_multipassILj512ELj16ELj2048ELj32EliEEvT4_PKS1_S3_PKT3_S3_S6_S3_S6_S3_S6_PS1_PS4_21rocsparse_index_base_S9_S9_S9_bb.private_seg_size, 0
	.set _ZN9rocsparseL45csrgemm_symbolic_fill_block_per_row_multipassILj512ELj16ELj2048ELj32EliEEvT4_PKS1_S3_PKT3_S3_S6_S3_S6_S3_S6_PS1_PS4_21rocsparse_index_base_S9_S9_S9_bb.uses_vcc, 1
	.set _ZN9rocsparseL45csrgemm_symbolic_fill_block_per_row_multipassILj512ELj16ELj2048ELj32EliEEvT4_PKS1_S3_PKT3_S3_S6_S3_S6_S3_S6_PS1_PS4_21rocsparse_index_base_S9_S9_S9_bb.uses_flat_scratch, 0
	.set _ZN9rocsparseL45csrgemm_symbolic_fill_block_per_row_multipassILj512ELj16ELj2048ELj32EliEEvT4_PKS1_S3_PKT3_S3_S6_S3_S6_S3_S6_PS1_PS4_21rocsparse_index_base_S9_S9_S9_bb.has_dyn_sized_stack, 0
	.set _ZN9rocsparseL45csrgemm_symbolic_fill_block_per_row_multipassILj512ELj16ELj2048ELj32EliEEvT4_PKS1_S3_PKT3_S3_S6_S3_S6_S3_S6_PS1_PS4_21rocsparse_index_base_S9_S9_S9_bb.has_recursion, 0
	.set _ZN9rocsparseL45csrgemm_symbolic_fill_block_per_row_multipassILj512ELj16ELj2048ELj32EliEEvT4_PKS1_S3_PKT3_S3_S6_S3_S6_S3_S6_PS1_PS4_21rocsparse_index_base_S9_S9_S9_bb.has_indirect_call, 0
	.section	.AMDGPU.csdata,"",@progbits
; Kernel info:
; codeLenInByte = 2512
; TotalNumSgprs: 59
; NumVgprs: 34
; ScratchSize: 0
; MemoryBound: 0
; FloatMode: 240
; IeeeMode: 1
; LDSByteSize: 10244 bytes/workgroup (compile time only)
; SGPRBlocks: 0
; VGPRBlocks: 2
; NumSGPRsForWavesPerEU: 59
; NumVGPRsForWavesPerEU: 34
; NamedBarCnt: 0
; Occupancy: 16
; WaveLimiterHint : 1
; COMPUTE_PGM_RSRC2:SCRATCH_EN: 0
; COMPUTE_PGM_RSRC2:USER_SGPR: 2
; COMPUTE_PGM_RSRC2:TRAP_HANDLER: 0
; COMPUTE_PGM_RSRC2:TGID_X_EN: 1
; COMPUTE_PGM_RSRC2:TGID_Y_EN: 0
; COMPUTE_PGM_RSRC2:TGID_Z_EN: 0
; COMPUTE_PGM_RSRC2:TIDIG_COMP_CNT: 0
	.section	.text._ZN9rocsparseL45csrgemm_symbolic_fill_block_per_row_multipassILj512ELj16ELj2048ELj64EliEEvT4_PKS1_S3_PKT3_S3_S6_S3_S6_S3_S6_PS1_PS4_21rocsparse_index_base_S9_S9_S9_bb,"axG",@progbits,_ZN9rocsparseL45csrgemm_symbolic_fill_block_per_row_multipassILj512ELj16ELj2048ELj64EliEEvT4_PKS1_S3_PKT3_S3_S6_S3_S6_S3_S6_PS1_PS4_21rocsparse_index_base_S9_S9_S9_bb,comdat
	.globl	_ZN9rocsparseL45csrgemm_symbolic_fill_block_per_row_multipassILj512ELj16ELj2048ELj64EliEEvT4_PKS1_S3_PKT3_S3_S6_S3_S6_S3_S6_PS1_PS4_21rocsparse_index_base_S9_S9_S9_bb ; -- Begin function _ZN9rocsparseL45csrgemm_symbolic_fill_block_per_row_multipassILj512ELj16ELj2048ELj64EliEEvT4_PKS1_S3_PKT3_S3_S6_S3_S6_S3_S6_PS1_PS4_21rocsparse_index_base_S9_S9_S9_bb
	.p2align	8
	.type	_ZN9rocsparseL45csrgemm_symbolic_fill_block_per_row_multipassILj512ELj16ELj2048ELj64EliEEvT4_PKS1_S3_PKT3_S3_S6_S3_S6_S3_S6_PS1_PS4_21rocsparse_index_base_S9_S9_S9_bb,@function
_ZN9rocsparseL45csrgemm_symbolic_fill_block_per_row_multipassILj512ELj16ELj2048ELj64EliEEvT4_PKS1_S3_PKT3_S3_S6_S3_S6_S3_S6_PS1_PS4_21rocsparse_index_base_S9_S9_S9_bb: ; @_ZN9rocsparseL45csrgemm_symbolic_fill_block_per_row_multipassILj512ELj16ELj2048ELj64EliEEvT4_PKS1_S3_PKT3_S3_S6_S3_S6_S3_S6_PS1_PS4_21rocsparse_index_base_S9_S9_S9_bb
; %bb.0:
	s_clause 0x2
	s_load_b128 s[12:15], s[0:1], 0x8
	s_load_b32 s11, s[0:1], 0x70
	s_load_b64 s[6:7], s[0:1], 0x18
	s_getreg_b32 s5, hwreg(HW_REG_IB_STS2, 6, 4)
	s_mov_b32 s9, 0
	s_wait_kmcnt 0x0
	s_load_b32 s2, s[12:13], 0x0
	s_load_b128 s[36:39], s[0:1], 0x60
	s_bitcmp1_b32 s11, 0
	s_cselect_b32 s10, -1, 0
	s_bfe_u32 s3, ttmp6, 0x4000c
	s_and_b32 s4, ttmp6, 15
	s_add_co_i32 s3, s3, 1
	s_delay_alu instid0(SALU_CYCLE_1) | instskip(NEXT) | instid1(SALU_CYCLE_1)
	s_mul_i32 s3, ttmp9, s3
	s_add_co_i32 s4, s4, s3
	s_cmp_eq_u32 s5, 0
	s_cselect_b32 s3, ttmp9, s4
	s_wait_kmcnt 0x0
	s_add_co_i32 s2, s2, s3
	s_bitcmp0_b32 s11, 0
	s_load_b32 s4, s[14:15], s2 offset:0x0 scale_offset
	s_wait_xcnt 0x0
	s_mov_b64 s[14:15], 0
	s_mov_b64 s[2:3], 0
	s_cbranch_scc0 .LBB45_3
; %bb.1:
	s_and_not1_b32 vcc_lo, exec_lo, s10
	s_cbranch_vccz .LBB45_4
.LBB45_2:
	s_load_b32 s33, s[0:1], 0x0
	s_wait_kmcnt 0x0
	s_cmp_lt_i32 s33, 1
	s_cbranch_scc0 .LBB45_5
	s_branch .LBB45_64
.LBB45_3:
	s_wait_kmcnt 0x0
	s_ashr_i32 s5, s4, 31
	s_mov_b32 s8, s36
	s_lshl_b64 s[2:3], s[4:5], 3
	s_delay_alu instid0(SALU_CYCLE_1)
	s_add_nc_u64 s[2:3], s[6:7], s[2:3]
	s_load_b64 s[2:3], s[2:3], 0x0
	s_wait_kmcnt 0x0
	s_sub_nc_u64 s[2:3], s[2:3], s[8:9]
	s_and_not1_b32 vcc_lo, exec_lo, s10
	s_cbranch_vccnz .LBB45_2
.LBB45_4:
	s_wait_kmcnt 0x0
	s_ashr_i32 s5, s4, 31
	s_delay_alu instid0(SALU_CYCLE_1) | instskip(NEXT) | instid1(SALU_CYCLE_1)
	s_lshl_b64 s[8:9], s[4:5], 3
	s_add_nc_u64 s[6:7], s[6:7], s[8:9]
	s_mov_b32 s9, 0
	s_load_b64 s[6:7], s[6:7], 0x8
	s_mov_b32 s8, s36
	s_wait_kmcnt 0x0
	s_sub_nc_u64 s[14:15], s[6:7], s[8:9]
	s_load_b32 s33, s[0:1], 0x0
	s_wait_kmcnt 0x0
	s_cmp_lt_i32 s33, 1
	s_cbranch_scc1 .LBB45_64
.LBB45_5:
	s_clause 0x1
	s_load_b256 s[16:23], s[0:1], 0x40
	s_load_b256 s[24:31], s[0:1], 0x20
	v_mbcnt_lo_u32_b32 v8, -1, 0
	s_bitcmp1_b32 s11, 8
	v_mov_b32_e32 v3, 0
	s_cselect_b32 s42, -1, 0
	s_ashr_i32 s5, s4, 31
	v_xor_b32_e32 v9, 8, v8
	s_lshl_b64 s[12:13], s[4:5], 3
	v_dual_mov_b32 v11, v3 :: v_dual_mov_b32 v1, v3
	s_mov_b32 s35, 0
	s_delay_alu instid0(VALU_DEP_2)
	v_cmp_gt_i32_e32 vcc_lo, 32, v9
	v_xor_b32_e32 v12, 4, v8
	s_mov_b32 s40, s39
	s_mov_b32 s41, s35
	v_xor_b32_e32 v14, 1, v8
	v_xor_b32_e32 v13, 2, v8
	v_sub_nc_u64_e64 v[6:7], v[0:1], s[40:41]
	v_cndmask_b32_e32 v1, v8, v9, vcc_lo
	s_wait_kmcnt 0x0
	s_add_nc_u64 s[4:5], s[18:19], s[12:13]
	v_cmp_gt_i32_e32 vcc_lo, 32, v12
	s_load_b64 s[4:5], s[4:5], 0x0
	v_dual_lshrrev_b32 v10, 4, v0 :: v_dual_bitop2_b32 v2, 15, v0 bitop3:0x40
	s_mov_b32 s34, s38
	v_cndmask_b32_e32 v9, v8, v12, vcc_lo
	v_cmp_gt_i32_e32 vcc_lo, 32, v13
	v_dual_lshlrev_b32 v1, 2, v1 :: v_dual_bitop2_b32 v15, 31, v8 bitop3:0x14
	v_add_nc_u64_e32 v[4:5], s[2:3], v[10:11]
	v_dual_mov_b32 v29, 1 :: v_dual_bitop2_b32 v28, 28, v10 bitop3:0x40
	v_cndmask_b32_e32 v11, v8, v13, vcc_lo
	v_cmp_gt_i32_e32 vcc_lo, 32, v14
	v_cmp_eq_u32_e64 s0, 0, v0
	v_cmp_eq_u32_e64 s1, 15, v2
	v_cmp_eq_u32_e64 s2, 0x1ff, v0
	v_dual_lshlrev_b32 v26, 2, v11 :: v_dual_cndmask_b32 v12, v8, v14, vcc_lo
	v_cmp_gt_i64_e32 vcc_lo, s[14:15], v[4:5]
	v_lshrrev_b32_e64 v8, v15, -1
	s_wait_kmcnt 0x0
	s_sub_nc_u64 s[18:19], s[4:5], s[34:35]
	v_dual_lshlrev_b32 v9, 2, v9 :: v_dual_lshlrev_b32 v27, 2, v12
	v_mov_b64_e32 v[10:11], s[18:19]
	v_cmp_gt_u32_e64 s3, 64, v0
	v_cmp_gt_u32_e64 s4, 0x80, v0
	;; [unrolled: 1-line block ×7, first 2 shown]
	v_dual_mov_b32 v31, 0x800 :: v_dual_mov_b32 v30, v3
	s_mov_b32 s34, s37
	s_add_nc_u64 s[18:19], s[30:31], s[12:13]
	s_and_b32 s30, s10, vcc_lo
	s_mov_b32 s31, -1
	s_branch .LBB45_7
.LBB45_6:                               ;   in Loop: Header=BB45_7 Depth=1
	s_or_b32 exec_lo, exec_lo, s10
	ds_load_b32 v30, v3 offset:10240
	s_wait_dscnt 0x0
	s_barrier_signal -1
	s_barrier_wait -1
	v_cmp_le_i32_e32 vcc_lo, s33, v30
	v_add_nc_u32_e32 v31, 0x800, v30
	s_cbranch_vccnz .LBB45_64
.LBB45_7:                               ; =>This Loop Header: Depth=1
                                        ;     Child Loop BB45_16 Depth 2
                                        ;       Child Loop BB45_22 Depth 3
                                        ;     Child Loop BB45_43 Depth 2
                                        ;     Child Loop BB45_55 Depth 2
	;; [unrolled: 1-line block ×3, first 2 shown]
	s_and_saveexec_b32 s10, s31
	s_cbranch_execnz .LBB45_34
; %bb.8:                                ;   in Loop: Header=BB45_7 Depth=1
	s_or_b32 exec_lo, exec_lo, s10
	s_and_saveexec_b32 s10, s31
	s_cbranch_execnz .LBB45_35
.LBB45_9:                               ;   in Loop: Header=BB45_7 Depth=1
	s_or_b32 exec_lo, exec_lo, s10
	s_and_saveexec_b32 s10, s31
	s_cbranch_execnz .LBB45_36
.LBB45_10:                              ;   in Loop: Header=BB45_7 Depth=1
	s_or_b32 exec_lo, exec_lo, s10
	s_and_saveexec_b32 s10, s31
	s_cbranch_execnz .LBB45_37
.LBB45_11:                              ;   in Loop: Header=BB45_7 Depth=1
	s_or_b32 exec_lo, exec_lo, s10
	s_and_saveexec_b32 s10, s0
.LBB45_12:                              ;   in Loop: Header=BB45_7 Depth=1
	v_mov_b32_e32 v12, s33
	ds_store_b32 v3, v12 offset:10240
.LBB45_13:                              ;   in Loop: Header=BB45_7 Depth=1
	s_or_b32 exec_lo, exec_lo, s10
	v_mov_b32_e32 v32, s33
	s_wait_dscnt 0x0
	s_barrier_signal -1
	s_barrier_wait -1
	s_and_saveexec_b32 s13, s30
	s_cbranch_execz .LBB45_39
; %bb.14:                               ;   in Loop: Header=BB45_7 Depth=1
	v_mov_b64_e32 v[12:13], v[4:5]
	v_cmp_ne_u32_e64 s10, 0, v30
	v_mov_b32_e32 v32, s33
	s_mov_b32 s43, 0
	s_branch .LBB45_16
.LBB45_15:                              ;   in Loop: Header=BB45_16 Depth=2
	s_wait_xcnt 0x0
	s_or_b32 exec_lo, exec_lo, s11
	v_add_nc_u64_e32 v[12:13], 32, v[12:13]
	s_delay_alu instid0(VALU_DEP_1) | instskip(SKIP_1) | instid1(SALU_CYCLE_1)
	v_cmp_le_i64_e32 vcc_lo, s[14:15], v[12:13]
	s_or_b32 s43, vcc_lo, s43
	s_and_not1_b32 exec_lo, exec_lo, s43
	s_cbranch_execz .LBB45_38
.LBB45_16:                              ;   Parent Loop BB45_7 Depth=1
                                        ; =>  This Loop Header: Depth=2
                                        ;       Child Loop BB45_22 Depth 3
	v_lshl_add_u64 v[14:15], v[12:13], 2, s[24:25]
	s_and_b32 vcc_lo, exec_lo, s10
	global_load_b32 v14, v[14:15], off
	s_wait_loadcnt 0x0
	v_subrev_nc_u32_e32 v16, s36, v14
	s_wait_xcnt 0x0
	v_lshl_add_u64 v[14:15], v[12:13], 3, s[22:23]
	s_delay_alu instid0(VALU_DEP_2)
	v_ashrrev_i32_e32 v17, 31, v16
	s_cbranch_vccz .LBB45_33
; %bb.17:                               ;   in Loop: Header=BB45_16 Depth=2
	global_load_b64 v[20:21], v[14:15], off
	s_cbranch_execnz .LBB45_19
.LBB45_18:                              ;   in Loop: Header=BB45_16 Depth=2
	s_wait_dscnt 0x0
	global_load_b64 v[18:19], v16, s[26:27] scale_offset
	s_wait_loadcnt 0x0
	v_sub_nc_u64_e64 v[20:21], v[18:19], s[34:35]
.LBB45_19:                              ;   in Loop: Header=BB45_16 Depth=2
	s_wait_xcnt 0x0
	v_lshl_add_u64 v[16:17], v[16:17], 3, s[26:27]
	s_mov_b32 s44, exec_lo
	global_load_b64 v[16:17], v[16:17], off offset:8
	s_wait_loadcnt_dscnt 0x0
	v_sub_nc_u64_e64 v[18:19], v[16:17], s[34:35]
	s_wait_xcnt 0x0
	v_add_nc_u64_e32 v[16:17], v[20:21], v[2:3]
	s_delay_alu instid0(VALU_DEP_1)
	v_cmpx_lt_i64_e64 v[16:17], v[18:19]
	s_cbranch_execz .LBB45_31
; %bb.20:                               ;   in Loop: Header=BB45_16 Depth=2
	v_mov_b64_e32 v[24:25], v[16:17]
	v_lshl_add_u64 v[20:21], v[16:17], 2, s[28:29]
	s_mov_b32 s46, 0
                                        ; implicit-def: $sgpr45
                                        ; implicit-def: $sgpr47
	s_branch .LBB45_22
.LBB45_21:                              ;   in Loop: Header=BB45_22 Depth=3
	s_or_b32 exec_lo, exec_lo, s48
	s_delay_alu instid0(SALU_CYCLE_1) | instskip(NEXT) | instid1(SALU_CYCLE_1)
	s_and_b32 s11, exec_lo, s12
	s_or_b32 s46, s11, s46
	s_and_not1_b32 s11, s45, exec_lo
	s_and_b32 s12, s47, exec_lo
	s_delay_alu instid0(SALU_CYCLE_1)
	s_or_b32 s45, s11, s12
	s_and_not1_b32 exec_lo, exec_lo, s46
	s_cbranch_execz .LBB45_28
.LBB45_22:                              ;   Parent Loop BB45_7 Depth=1
                                        ;     Parent Loop BB45_16 Depth=2
                                        ; =>    This Inner Loop Header: Depth=3
	global_load_b32 v22, v[20:21], off
	s_wait_loadcnt 0x0
	v_subrev_nc_u32_e32 v33, s37, v22
	v_mov_b64_e32 v[22:23], v[24:25]
	s_delay_alu instid0(VALU_DEP_2)
	v_cmp_lt_i32_e64 s11, v33, v30
	v_cmp_ge_i32_e64 s12, v33, v31
	v_cmp_lt_i32_e32 vcc_lo, v33, v31
	s_or_b32 s12, s11, s12
	s_mov_b32 s11, 0
	s_wait_xcnt 0x0
	s_and_saveexec_b32 s48, s12
	s_delay_alu instid0(SALU_CYCLE_1)
	s_xor_b32 s12, exec_lo, s48
; %bb.23:                               ;   in Loop: Header=BB45_22 Depth=3
	s_and_b32 s11, vcc_lo, exec_lo
; %bb.24:                               ;   in Loop: Header=BB45_22 Depth=3
	s_and_not1_saveexec_b32 s12, s12
; %bb.25:                               ;   in Loop: Header=BB45_22 Depth=3
	v_sub_nc_u32_e32 v24, v33, v30
	s_or_b32 s11, s11, exec_lo
	ds_store_b8 v24, v29 offset:8192
; %bb.26:                               ;   in Loop: Header=BB45_22 Depth=3
	s_or_b32 exec_lo, exec_lo, s12
	s_mov_b32 s12, -1
	s_or_b32 s47, s47, exec_lo
                                        ; implicit-def: $vgpr24_vgpr25
	s_and_saveexec_b32 s48, s11
	s_cbranch_execz .LBB45_21
; %bb.27:                               ;   in Loop: Header=BB45_22 Depth=3
	v_add_nc_u64_e32 v[24:25], 16, v[22:23]
	v_add_nc_u64_e32 v[20:21], 64, v[20:21]
	s_and_not1_b32 s47, s47, exec_lo
	s_delay_alu instid0(VALU_DEP_2)
	v_cmp_ge_i64_e32 vcc_lo, v[24:25], v[18:19]
	s_or_not1_b32 s12, vcc_lo, exec_lo
	s_branch .LBB45_21
.LBB45_28:                              ;   in Loop: Header=BB45_16 Depth=2
	s_or_b32 exec_lo, exec_lo, s46
	s_and_saveexec_b32 s11, s45
	s_delay_alu instid0(SALU_CYCLE_1)
	s_xor_b32 s11, exec_lo, s11
; %bb.29:                               ;   in Loop: Header=BB45_16 Depth=2
	v_mov_b64_e32 v[16:17], v[22:23]
	v_min_i32_e32 v32, v33, v32
; %bb.30:                               ;   in Loop: Header=BB45_16 Depth=2
	s_or_b32 exec_lo, exec_lo, s11
.LBB45_31:                              ;   in Loop: Header=BB45_16 Depth=2
	s_delay_alu instid0(SALU_CYCLE_1)
	s_or_b32 exec_lo, exec_lo, s44
	ds_bpermute_b32 v18, v1, v16
	ds_bpermute_b32 v19, v1, v17
	s_wait_dscnt 0x0
	v_min_i64 v[16:17], v[18:19], v[16:17]
	ds_bpermute_b32 v18, v9, v16
	ds_bpermute_b32 v19, v9, v17
	s_wait_dscnt 0x0
	v_min_i64 v[16:17], v[18:19], v[16:17]
	;; [unrolled: 4-line block ×3, first 2 shown]
	ds_bpermute_b32 v18, v27, v16
	ds_bpermute_b32 v19, v27, v17
	s_and_saveexec_b32 s11, s1
	s_cbranch_execz .LBB45_15
; %bb.32:                               ;   in Loop: Header=BB45_16 Depth=2
	s_wait_dscnt 0x0
	v_min_i64 v[16:17], v[18:19], v[16:17]
	global_store_b64 v[14:15], v[16:17], off
	s_branch .LBB45_15
.LBB45_33:                              ;   in Loop: Header=BB45_16 Depth=2
                                        ; implicit-def: $vgpr20_vgpr21
	s_branch .LBB45_18
.LBB45_34:                              ;   in Loop: Header=BB45_7 Depth=1
	ds_store_b8 v0, v3 offset:8192
	s_or_b32 exec_lo, exec_lo, s10
	s_and_saveexec_b32 s10, s31
	s_cbranch_execz .LBB45_9
.LBB45_35:                              ;   in Loop: Header=BB45_7 Depth=1
	ds_store_b8 v0, v3 offset:8704
	s_or_b32 exec_lo, exec_lo, s10
	s_and_saveexec_b32 s10, s31
	s_cbranch_execz .LBB45_10
.LBB45_36:                              ;   in Loop: Header=BB45_7 Depth=1
	ds_store_b8 v0, v3 offset:9216
	s_or_b32 exec_lo, exec_lo, s10
	s_and_saveexec_b32 s10, s31
	s_cbranch_execz .LBB45_11
.LBB45_37:                              ;   in Loop: Header=BB45_7 Depth=1
	ds_store_b8 v0, v3 offset:9728
	s_or_b32 exec_lo, exec_lo, s10
	s_and_saveexec_b32 s10, s0
	s_cbranch_execnz .LBB45_12
	s_branch .LBB45_13
.LBB45_38:                              ;   in Loop: Header=BB45_7 Depth=1
	s_or_b32 exec_lo, exec_lo, s43
.LBB45_39:                              ;   in Loop: Header=BB45_7 Depth=1
	s_delay_alu instid0(SALU_CYCLE_1) | instskip(NEXT) | instid1(SALU_CYCLE_1)
	s_or_b32 exec_lo, exec_lo, s13
	s_and_not1_b32 vcc_lo, exec_lo, s42
	s_cbranch_vccnz .LBB45_53
; %bb.40:                               ;   in Loop: Header=BB45_7 Depth=1
	s_load_b128 s[44:47], s[18:19], 0x0
	s_mov_b32 s43, exec_lo
	s_wait_kmcnt 0x0
	v_add_nc_u64_e32 v[12:13], s[44:45], v[6:7]
	s_sub_nc_u64 s[12:13], s[46:47], s[40:41]
	s_delay_alu instid0(VALU_DEP_1) | instid1(SALU_CYCLE_1)
	v_cmpx_gt_i64_e64 s[12:13], v[12:13]
	s_cbranch_execz .LBB45_52
; %bb.41:                               ;   in Loop: Header=BB45_7 Depth=1
	v_lshl_add_u64 v[14:15], v[12:13], 2, s[16:17]
	s_mov_b32 s44, 0
                                        ; implicit-def: $sgpr45
                                        ; implicit-def: $sgpr46
	s_branch .LBB45_43
.LBB45_42:                              ;   in Loop: Header=BB45_43 Depth=2
	s_or_b32 exec_lo, exec_lo, s47
	s_delay_alu instid0(SALU_CYCLE_1) | instskip(NEXT) | instid1(SALU_CYCLE_1)
	s_and_b32 s10, exec_lo, s11
	s_or_b32 s44, s10, s44
	s_and_not1_b32 s10, s45, exec_lo
	s_and_b32 s11, s46, exec_lo
	s_delay_alu instid0(SALU_CYCLE_1)
	s_or_b32 s45, s10, s11
	s_and_not1_b32 exec_lo, exec_lo, s44
	s_cbranch_execz .LBB45_49
.LBB45_43:                              ;   Parent Loop BB45_7 Depth=1
                                        ; =>  This Inner Loop Header: Depth=2
	global_load_b32 v16, v[14:15], off
	s_wait_loadcnt 0x0
	v_subrev_nc_u32_e32 v16, s39, v16
	s_delay_alu instid0(VALU_DEP_1)
	v_cmp_lt_i32_e64 s10, v16, v30
	v_cmp_ge_i32_e64 s11, v16, v31
	v_cmp_lt_i32_e32 vcc_lo, v16, v31
	s_or_b32 s11, s10, s11
	s_mov_b32 s10, 0
	s_wait_xcnt 0x0
	s_and_saveexec_b32 s47, s11
	s_delay_alu instid0(SALU_CYCLE_1)
	s_xor_b32 s11, exec_lo, s47
; %bb.44:                               ;   in Loop: Header=BB45_43 Depth=2
	s_and_b32 s10, vcc_lo, exec_lo
; %bb.45:                               ;   in Loop: Header=BB45_43 Depth=2
	s_and_not1_saveexec_b32 s11, s11
; %bb.46:                               ;   in Loop: Header=BB45_43 Depth=2
	v_sub_nc_u32_e32 v17, v16, v30
	s_or_b32 s10, s10, exec_lo
	ds_store_b8 v17, v29 offset:8192
; %bb.47:                               ;   in Loop: Header=BB45_43 Depth=2
	s_or_b32 exec_lo, exec_lo, s11
	s_mov_b32 s11, -1
	s_or_b32 s46, s46, exec_lo
	s_and_saveexec_b32 s47, s10
	s_cbranch_execz .LBB45_42
; %bb.48:                               ;   in Loop: Header=BB45_43 Depth=2
	v_add_nc_u64_e32 v[12:13], 0x200, v[12:13]
	v_add_nc_u64_e32 v[14:15], 0x800, v[14:15]
	s_and_not1_b32 s46, s46, exec_lo
	s_delay_alu instid0(VALU_DEP_2)
	v_cmp_le_i64_e32 vcc_lo, s[12:13], v[12:13]
	s_or_not1_b32 s11, vcc_lo, exec_lo
	s_branch .LBB45_42
.LBB45_49:                              ;   in Loop: Header=BB45_7 Depth=1
	s_or_b32 exec_lo, exec_lo, s44
	s_and_saveexec_b32 s10, s45
	s_delay_alu instid0(SALU_CYCLE_1)
	s_xor_b32 s10, exec_lo, s10
; %bb.50:                               ;   in Loop: Header=BB45_7 Depth=1
	v_min_i32_e32 v32, v16, v32
; %bb.51:                               ;   in Loop: Header=BB45_7 Depth=1
	s_or_b32 exec_lo, exec_lo, s10
.LBB45_52:                              ;   in Loop: Header=BB45_7 Depth=1
	s_delay_alu instid0(SALU_CYCLE_1)
	s_or_b32 exec_lo, exec_lo, s43
.LBB45_53:                              ;   in Loop: Header=BB45_7 Depth=1
	ds_bpermute_b32 v12, v1, v32
	s_wait_dscnt 0x0
	v_min_i32_e32 v12, v12, v32
	ds_bpermute_b32 v13, v9, v12
	s_wait_dscnt 0x0
	v_min_i32_e32 v12, v13, v12
	;; [unrolled: 3-line block ×3, first 2 shown]
	ds_bpermute_b32 v13, v27, v12
	s_and_saveexec_b32 s10, s1
	s_cbranch_execz .LBB45_58
; %bb.54:                               ;   in Loop: Header=BB45_7 Depth=1
	s_wait_dscnt 0x0
	v_min_i32_e32 v12, v13, v12
	s_mov_b32 s12, exec_lo
	s_brev_b32 s11, -2
.LBB45_55:                              ;   Parent Loop BB45_7 Depth=1
                                        ; =>  This Inner Loop Header: Depth=2
	s_ctz_i32_b32 s13, s12
	s_delay_alu instid0(VALU_DEP_1) | instid1(SALU_CYCLE_1)
	v_readlane_b32 s43, v12, s13
	s_lshl_b32 s13, 1, s13
	s_delay_alu instid0(SALU_CYCLE_1)
	s_and_not1_b32 s12, s12, s13
	s_min_i32 s11, s11, s43
	s_cmp_lg_u32 s12, 0
	s_cbranch_scc1 .LBB45_55
; %bb.56:                               ;   in Loop: Header=BB45_7 Depth=1
	v_mbcnt_lo_u32_b32 v12, exec_lo, 0
	s_mov_b32 s12, exec_lo
	s_delay_alu instid0(VALU_DEP_1)
	v_cmpx_eq_u32_e32 0, v12
	s_xor_b32 s12, exec_lo, s12
; %bb.57:                               ;   in Loop: Header=BB45_7 Depth=1
	v_mov_b32_e32 v12, s11
	ds_min_i32 v3, v12 offset:10240
.LBB45_58:                              ;   in Loop: Header=BB45_7 Depth=1
	s_or_b32 exec_lo, exec_lo, s10
	v_dual_mov_b32 v15, v0 :: v_dual_add_nc_u32 v14, s38, v30
	s_mov_b32 s10, 0
	s_wait_storecnt_dscnt 0x0
	s_barrier_signal -1
	s_barrier_wait -1
	s_branch .LBB45_60
.LBB45_59:                              ;   in Loop: Header=BB45_60 Depth=2
	s_or_b32 exec_lo, exec_lo, s11
	s_wait_storecnt_dscnt 0x0
	s_barrier_signal -1
	s_barrier_wait -1
	ds_load_b32 v12, v3 offset:28
	v_add_nc_u32_e32 v16, 0x200, v15
	v_cmp_lt_u32_e32 vcc_lo, 0x5ff, v15
	s_delay_alu instid0(VALU_DEP_2) | instskip(SKIP_3) | instid1(VALU_DEP_1)
	v_mov_b32_e32 v15, v16
	s_or_b32 s10, vcc_lo, s10
	s_wait_dscnt 0x0
	v_ashrrev_i32_e32 v13, 31, v12
	v_add_nc_u64_e32 v[10:11], v[10:11], v[12:13]
	s_and_not1_b32 exec_lo, exec_lo, s10
	s_cbranch_execz .LBB45_6
.LBB45_60:                              ;   Parent Loop BB45_7 Depth=1
                                        ; =>  This Inner Loop Header: Depth=2
	ds_load_u8 v12, v15 offset:8192
	s_wait_dscnt 0x0
	s_barrier_signal -1
	s_barrier_wait -1
	v_cmp_ne_u16_e32 vcc_lo, 0, v12
	s_bcnt1_i32_b32 s11, vcc_lo
	s_delay_alu instid0(SALU_CYCLE_1)
	v_mov_b32_e32 v13, s11
	s_mov_b32 s11, exec_lo
	ds_store_b32 v28, v13
	s_wait_dscnt 0x0
	s_barrier_signal -1
	s_barrier_wait -1
	ds_load_b128 v[16:19], v3
	ds_load_b96 v[20:22], v3 offset:16
	v_and_b32_e32 v13, vcc_lo, v8
	s_wait_dscnt 0x1
	v_cndmask_b32_e64 v16, v16, 0, s3
	v_cndmask_b32_e64 v17, v17, 0, s4
	;; [unrolled: 1-line block ×3, first 2 shown]
	s_delay_alu instid0(VALU_DEP_3) | instskip(SKIP_3) | instid1(VALU_DEP_3)
	v_bcnt_u32_b32 v13, v13, v16
	v_cndmask_b32_e64 v16, v19, 0, s6
	s_wait_dscnt 0x0
	v_cndmask_b32_e64 v19, v20, 0, s7
	v_add3_u32 v13, v13, v17, v18
	v_cndmask_b32_e64 v17, v21, 0, s8
	v_cndmask_b32_e64 v18, v22, 0, s9
	s_delay_alu instid0(VALU_DEP_3) | instskip(SKIP_1) | instid1(VALU_DEP_2)
	v_add3_u32 v13, v13, v16, v19
	v_and_b32_e32 v16, 1, v12
	v_add3_u32 v12, v13, v17, v18
	s_delay_alu instid0(VALU_DEP_2)
	v_cmpx_eq_u32_e32 1, v16
	s_cbranch_execz .LBB45_62
; %bb.61:                               ;   in Loop: Header=BB45_60 Depth=2
	v_lshl_add_u64 v[16:17], v[10:11], 2, s[20:21]
	s_delay_alu instid0(VALU_DEP_3) | instskip(NEXT) | instid1(VALU_DEP_1)
	v_dual_ashrrev_i32 v13, 31, v12 :: v_dual_add_nc_u32 v18, v14, v15
	v_lshl_add_u64 v[16:17], v[12:13], 2, v[16:17]
	global_store_b32 v[16:17], v18, off offset:-4
.LBB45_62:                              ;   in Loop: Header=BB45_60 Depth=2
	s_wait_xcnt 0x0
	s_or_b32 exec_lo, exec_lo, s11
	s_and_saveexec_b32 s11, s2
	s_cbranch_execz .LBB45_59
; %bb.63:                               ;   in Loop: Header=BB45_60 Depth=2
	ds_store_b32 v3, v12 offset:28
	s_branch .LBB45_59
.LBB45_64:
	s_endpgm
	.section	.rodata,"a",@progbits
	.p2align	6, 0x0
	.amdhsa_kernel _ZN9rocsparseL45csrgemm_symbolic_fill_block_per_row_multipassILj512ELj16ELj2048ELj64EliEEvT4_PKS1_S3_PKT3_S3_S6_S3_S6_S3_S6_PS1_PS4_21rocsparse_index_base_S9_S9_S9_bb
		.amdhsa_group_segment_fixed_size 10244
		.amdhsa_private_segment_fixed_size 0
		.amdhsa_kernarg_size 116
		.amdhsa_user_sgpr_count 2
		.amdhsa_user_sgpr_dispatch_ptr 0
		.amdhsa_user_sgpr_queue_ptr 0
		.amdhsa_user_sgpr_kernarg_segment_ptr 1
		.amdhsa_user_sgpr_dispatch_id 0
		.amdhsa_user_sgpr_kernarg_preload_length 0
		.amdhsa_user_sgpr_kernarg_preload_offset 0
		.amdhsa_user_sgpr_private_segment_size 0
		.amdhsa_wavefront_size32 1
		.amdhsa_uses_dynamic_stack 0
		.amdhsa_enable_private_segment 0
		.amdhsa_system_sgpr_workgroup_id_x 1
		.amdhsa_system_sgpr_workgroup_id_y 0
		.amdhsa_system_sgpr_workgroup_id_z 0
		.amdhsa_system_sgpr_workgroup_info 0
		.amdhsa_system_vgpr_workitem_id 0
		.amdhsa_next_free_vgpr 34
		.amdhsa_next_free_sgpr 49
		.amdhsa_named_barrier_count 0
		.amdhsa_reserve_vcc 1
		.amdhsa_float_round_mode_32 0
		.amdhsa_float_round_mode_16_64 0
		.amdhsa_float_denorm_mode_32 3
		.amdhsa_float_denorm_mode_16_64 3
		.amdhsa_fp16_overflow 0
		.amdhsa_memory_ordered 1
		.amdhsa_forward_progress 1
		.amdhsa_inst_pref_size 18
		.amdhsa_round_robin_scheduling 0
		.amdhsa_exception_fp_ieee_invalid_op 0
		.amdhsa_exception_fp_denorm_src 0
		.amdhsa_exception_fp_ieee_div_zero 0
		.amdhsa_exception_fp_ieee_overflow 0
		.amdhsa_exception_fp_ieee_underflow 0
		.amdhsa_exception_fp_ieee_inexact 0
		.amdhsa_exception_int_div_zero 0
	.end_amdhsa_kernel
	.section	.text._ZN9rocsparseL45csrgemm_symbolic_fill_block_per_row_multipassILj512ELj16ELj2048ELj64EliEEvT4_PKS1_S3_PKT3_S3_S6_S3_S6_S3_S6_PS1_PS4_21rocsparse_index_base_S9_S9_S9_bb,"axG",@progbits,_ZN9rocsparseL45csrgemm_symbolic_fill_block_per_row_multipassILj512ELj16ELj2048ELj64EliEEvT4_PKS1_S3_PKT3_S3_S6_S3_S6_S3_S6_PS1_PS4_21rocsparse_index_base_S9_S9_S9_bb,comdat
.Lfunc_end45:
	.size	_ZN9rocsparseL45csrgemm_symbolic_fill_block_per_row_multipassILj512ELj16ELj2048ELj64EliEEvT4_PKS1_S3_PKT3_S3_S6_S3_S6_S3_S6_PS1_PS4_21rocsparse_index_base_S9_S9_S9_bb, .Lfunc_end45-_ZN9rocsparseL45csrgemm_symbolic_fill_block_per_row_multipassILj512ELj16ELj2048ELj64EliEEvT4_PKS1_S3_PKT3_S3_S6_S3_S6_S3_S6_PS1_PS4_21rocsparse_index_base_S9_S9_S9_bb
                                        ; -- End function
	.set _ZN9rocsparseL45csrgemm_symbolic_fill_block_per_row_multipassILj512ELj16ELj2048ELj64EliEEvT4_PKS1_S3_PKT3_S3_S6_S3_S6_S3_S6_PS1_PS4_21rocsparse_index_base_S9_S9_S9_bb.num_vgpr, 34
	.set _ZN9rocsparseL45csrgemm_symbolic_fill_block_per_row_multipassILj512ELj16ELj2048ELj64EliEEvT4_PKS1_S3_PKT3_S3_S6_S3_S6_S3_S6_PS1_PS4_21rocsparse_index_base_S9_S9_S9_bb.num_agpr, 0
	.set _ZN9rocsparseL45csrgemm_symbolic_fill_block_per_row_multipassILj512ELj16ELj2048ELj64EliEEvT4_PKS1_S3_PKT3_S3_S6_S3_S6_S3_S6_PS1_PS4_21rocsparse_index_base_S9_S9_S9_bb.numbered_sgpr, 49
	.set _ZN9rocsparseL45csrgemm_symbolic_fill_block_per_row_multipassILj512ELj16ELj2048ELj64EliEEvT4_PKS1_S3_PKT3_S3_S6_S3_S6_S3_S6_PS1_PS4_21rocsparse_index_base_S9_S9_S9_bb.num_named_barrier, 0
	.set _ZN9rocsparseL45csrgemm_symbolic_fill_block_per_row_multipassILj512ELj16ELj2048ELj64EliEEvT4_PKS1_S3_PKT3_S3_S6_S3_S6_S3_S6_PS1_PS4_21rocsparse_index_base_S9_S9_S9_bb.private_seg_size, 0
	.set _ZN9rocsparseL45csrgemm_symbolic_fill_block_per_row_multipassILj512ELj16ELj2048ELj64EliEEvT4_PKS1_S3_PKT3_S3_S6_S3_S6_S3_S6_PS1_PS4_21rocsparse_index_base_S9_S9_S9_bb.uses_vcc, 1
	.set _ZN9rocsparseL45csrgemm_symbolic_fill_block_per_row_multipassILj512ELj16ELj2048ELj64EliEEvT4_PKS1_S3_PKT3_S3_S6_S3_S6_S3_S6_PS1_PS4_21rocsparse_index_base_S9_S9_S9_bb.uses_flat_scratch, 0
	.set _ZN9rocsparseL45csrgemm_symbolic_fill_block_per_row_multipassILj512ELj16ELj2048ELj64EliEEvT4_PKS1_S3_PKT3_S3_S6_S3_S6_S3_S6_PS1_PS4_21rocsparse_index_base_S9_S9_S9_bb.has_dyn_sized_stack, 0
	.set _ZN9rocsparseL45csrgemm_symbolic_fill_block_per_row_multipassILj512ELj16ELj2048ELj64EliEEvT4_PKS1_S3_PKT3_S3_S6_S3_S6_S3_S6_PS1_PS4_21rocsparse_index_base_S9_S9_S9_bb.has_recursion, 0
	.set _ZN9rocsparseL45csrgemm_symbolic_fill_block_per_row_multipassILj512ELj16ELj2048ELj64EliEEvT4_PKS1_S3_PKT3_S3_S6_S3_S6_S3_S6_PS1_PS4_21rocsparse_index_base_S9_S9_S9_bb.has_indirect_call, 0
	.section	.AMDGPU.csdata,"",@progbits
; Kernel info:
; codeLenInByte = 2304
; TotalNumSgprs: 51
; NumVgprs: 34
; ScratchSize: 0
; MemoryBound: 0
; FloatMode: 240
; IeeeMode: 1
; LDSByteSize: 10244 bytes/workgroup (compile time only)
; SGPRBlocks: 0
; VGPRBlocks: 2
; NumSGPRsForWavesPerEU: 51
; NumVGPRsForWavesPerEU: 34
; NamedBarCnt: 0
; Occupancy: 16
; WaveLimiterHint : 1
; COMPUTE_PGM_RSRC2:SCRATCH_EN: 0
; COMPUTE_PGM_RSRC2:USER_SGPR: 2
; COMPUTE_PGM_RSRC2:TRAP_HANDLER: 0
; COMPUTE_PGM_RSRC2:TGID_X_EN: 1
; COMPUTE_PGM_RSRC2:TGID_Y_EN: 0
; COMPUTE_PGM_RSRC2:TGID_Z_EN: 0
; COMPUTE_PGM_RSRC2:TIDIG_COMP_CNT: 0
	.section	.text._ZN9rocsparseL34csrgemm_symbolic_max_row_nnz_part1ILj256EllEEvT1_PKT0_PS1_,"axG",@progbits,_ZN9rocsparseL34csrgemm_symbolic_max_row_nnz_part1ILj256EllEEvT1_PKT0_PS1_,comdat
	.globl	_ZN9rocsparseL34csrgemm_symbolic_max_row_nnz_part1ILj256EllEEvT1_PKT0_PS1_ ; -- Begin function _ZN9rocsparseL34csrgemm_symbolic_max_row_nnz_part1ILj256EllEEvT1_PKT0_PS1_
	.p2align	8
	.type	_ZN9rocsparseL34csrgemm_symbolic_max_row_nnz_part1ILj256EllEEvT1_PKT0_PS1_,@function
_ZN9rocsparseL34csrgemm_symbolic_max_row_nnz_part1ILj256EllEEvT1_PKT0_PS1_: ; @_ZN9rocsparseL34csrgemm_symbolic_max_row_nnz_part1ILj256EllEEvT1_PKT0_PS1_
; %bb.0:
	s_bfe_u32 s2, ttmp6, 0x4000c
	s_load_b64 s[4:5], s[0:1], 0x0
	s_add_co_i32 s7, s2, 1
	s_load_b64 s[2:3], s[0:1], 0x10
	s_and_b32 s6, ttmp6, 15
	s_mul_i32 s7, ttmp9, s7
	s_getreg_b32 s8, hwreg(HW_REG_IB_STS2, 6, 4)
	s_add_co_i32 s6, s6, s7
	s_cmp_eq_u32 s8, 0
	v_mov_b64_e32 v[2:3], 0
	s_cselect_b32 s8, ttmp9, s6
	v_mov_b32_e32 v5, 0
	v_lshl_or_b32 v4, s8, 8, v0
	s_mov_b32 s7, 0
	s_mov_b32 s9, exec_lo
	s_wait_kmcnt 0x0
	s_delay_alu instid0(VALU_DEP_1)
	v_cmpx_gt_i64_e64 s[4:5], v[4:5]
	s_cbranch_execz .LBB46_4
; %bb.1:
	s_clause 0x1
	s_load_b32 s6, s[0:1], 0x18
	s_load_b64 s[10:11], s[0:1], 0x8
	v_mov_b64_e32 v[2:3], 0
	s_wait_kmcnt 0x0
	s_lshl_b32 s6, s6, 8
	v_lshl_add_u64 v[6:7], v[4:5], 3, s[10:11]
	s_lshl_b64 s[0:1], s[6:7], 3
	s_mov_b32 s10, s7
.LBB46_2:                               ; =>This Inner Loop Header: Depth=1
	global_load_b128 v[8:11], v[6:7], off
	v_add_nc_u64_e32 v[4:5], s[6:7], v[4:5]
	s_wait_xcnt 0x0
	v_add_nc_u64_e32 v[6:7], s[0:1], v[6:7]
	s_delay_alu instid0(VALU_DEP_2) | instskip(SKIP_3) | instid1(VALU_DEP_1)
	v_cmp_le_i64_e32 vcc_lo, s[4:5], v[4:5]
	s_or_b32 s10, vcc_lo, s10
	s_wait_loadcnt 0x0
	v_sub_nc_u64_e32 v[8:9], v[10:11], v[8:9]
	v_max_i64 v[2:3], v[2:3], v[8:9]
	s_and_not1_b32 exec_lo, exec_lo, s10
	s_cbranch_execnz .LBB46_2
; %bb.3:
	s_or_b32 exec_lo, exec_lo, s10
.LBB46_4:
	s_delay_alu instid0(SALU_CYCLE_1)
	s_or_b32 exec_lo, exec_lo, s9
	v_lshlrev_b32_e32 v1, 3, v0
	s_mov_b32 s0, exec_lo
	ds_store_b64 v1, v[2:3]
	s_wait_dscnt 0x0
	s_barrier_signal -1
	s_barrier_wait -1
	v_cmpx_gt_u32_e32 0x80, v0
	s_cbranch_execz .LBB46_6
; %bb.5:
	ds_load_2addr_stride64_b64 v[2:5], v1 offset1:2
	s_wait_dscnt 0x0
	v_max_i64 v[2:3], v[2:3], v[4:5]
	ds_store_b64 v1, v[2:3]
.LBB46_6:
	s_or_b32 exec_lo, exec_lo, s0
	s_delay_alu instid0(SALU_CYCLE_1)
	s_mov_b32 s0, exec_lo
	s_wait_dscnt 0x0
	s_barrier_signal -1
	s_barrier_wait -1
	v_cmpx_gt_u32_e32 64, v0
	s_cbranch_execz .LBB46_8
; %bb.7:
	ds_load_2addr_stride64_b64 v[2:5], v1 offset1:1
	s_wait_dscnt 0x0
	v_max_i64 v[2:3], v[2:3], v[4:5]
	ds_store_b64 v1, v[2:3]
.LBB46_8:
	s_or_b32 exec_lo, exec_lo, s0
	s_delay_alu instid0(SALU_CYCLE_1)
	s_mov_b32 s0, exec_lo
	s_wait_dscnt 0x0
	s_barrier_signal -1
	s_barrier_wait -1
	v_cmpx_gt_u32_e32 32, v0
	s_cbranch_execz .LBB46_10
; %bb.9:
	ds_load_2addr_b64 v[2:5], v1 offset1:32
	s_wait_dscnt 0x0
	v_max_i64 v[2:3], v[2:3], v[4:5]
	ds_store_b64 v1, v[2:3]
.LBB46_10:
	s_or_b32 exec_lo, exec_lo, s0
	s_delay_alu instid0(SALU_CYCLE_1)
	s_mov_b32 s0, exec_lo
	s_wait_dscnt 0x0
	s_barrier_signal -1
	s_barrier_wait -1
	v_cmpx_gt_u32_e32 16, v0
	s_cbranch_execz .LBB46_12
; %bb.11:
	ds_load_2addr_b64 v[2:5], v1 offset1:16
	s_wait_dscnt 0x0
	v_max_i64 v[2:3], v[2:3], v[4:5]
	ds_store_b64 v1, v[2:3]
.LBB46_12:
	;; [unrolled: 14-line block ×5, first 2 shown]
	s_or_b32 exec_lo, exec_lo, s0
	v_cmp_eq_u32_e32 vcc_lo, 0, v0
	s_wait_dscnt 0x0
	s_barrier_signal -1
	s_barrier_wait -1
	s_and_saveexec_b32 s0, vcc_lo
	s_cbranch_execz .LBB46_20
; %bb.19:
	v_mov_b32_e32 v4, 0
	ds_load_b128 v[0:3], v4
	s_wait_dscnt 0x0
	v_max_i64 v[0:1], v[0:1], v[2:3]
	ds_store_b64 v4, v[0:1]
.LBB46_20:
	s_or_b32 exec_lo, exec_lo, s0
	s_wait_dscnt 0x0
	s_barrier_signal -1
	s_barrier_wait -1
	s_and_saveexec_b32 s0, vcc_lo
	s_cbranch_execz .LBB46_22
; %bb.21:
	v_dual_mov_b32 v0, 0 :: v_dual_mov_b32 v2, s8
	ds_load_b64 v[0:1], v0
	s_wait_dscnt 0x0
	global_store_b64 v2, v[0:1], s[2:3] scale_offset
.LBB46_22:
	s_endpgm
	.section	.rodata,"a",@progbits
	.p2align	6, 0x0
	.amdhsa_kernel _ZN9rocsparseL34csrgemm_symbolic_max_row_nnz_part1ILj256EllEEvT1_PKT0_PS1_
		.amdhsa_group_segment_fixed_size 2048
		.amdhsa_private_segment_fixed_size 0
		.amdhsa_kernarg_size 280
		.amdhsa_user_sgpr_count 2
		.amdhsa_user_sgpr_dispatch_ptr 0
		.amdhsa_user_sgpr_queue_ptr 0
		.amdhsa_user_sgpr_kernarg_segment_ptr 1
		.amdhsa_user_sgpr_dispatch_id 0
		.amdhsa_user_sgpr_kernarg_preload_length 0
		.amdhsa_user_sgpr_kernarg_preload_offset 0
		.amdhsa_user_sgpr_private_segment_size 0
		.amdhsa_wavefront_size32 1
		.amdhsa_uses_dynamic_stack 0
		.amdhsa_enable_private_segment 0
		.amdhsa_system_sgpr_workgroup_id_x 1
		.amdhsa_system_sgpr_workgroup_id_y 0
		.amdhsa_system_sgpr_workgroup_id_z 0
		.amdhsa_system_sgpr_workgroup_info 0
		.amdhsa_system_vgpr_workitem_id 0
		.amdhsa_next_free_vgpr 12
		.amdhsa_next_free_sgpr 12
		.amdhsa_named_barrier_count 0
		.amdhsa_reserve_vcc 1
		.amdhsa_float_round_mode_32 0
		.amdhsa_float_round_mode_16_64 0
		.amdhsa_float_denorm_mode_32 3
		.amdhsa_float_denorm_mode_16_64 3
		.amdhsa_fp16_overflow 0
		.amdhsa_memory_ordered 1
		.amdhsa_forward_progress 1
		.amdhsa_inst_pref_size 6
		.amdhsa_round_robin_scheduling 0
		.amdhsa_exception_fp_ieee_invalid_op 0
		.amdhsa_exception_fp_denorm_src 0
		.amdhsa_exception_fp_ieee_div_zero 0
		.amdhsa_exception_fp_ieee_overflow 0
		.amdhsa_exception_fp_ieee_underflow 0
		.amdhsa_exception_fp_ieee_inexact 0
		.amdhsa_exception_int_div_zero 0
	.end_amdhsa_kernel
	.section	.text._ZN9rocsparseL34csrgemm_symbolic_max_row_nnz_part1ILj256EllEEvT1_PKT0_PS1_,"axG",@progbits,_ZN9rocsparseL34csrgemm_symbolic_max_row_nnz_part1ILj256EllEEvT1_PKT0_PS1_,comdat
.Lfunc_end46:
	.size	_ZN9rocsparseL34csrgemm_symbolic_max_row_nnz_part1ILj256EllEEvT1_PKT0_PS1_, .Lfunc_end46-_ZN9rocsparseL34csrgemm_symbolic_max_row_nnz_part1ILj256EllEEvT1_PKT0_PS1_
                                        ; -- End function
	.set _ZN9rocsparseL34csrgemm_symbolic_max_row_nnz_part1ILj256EllEEvT1_PKT0_PS1_.num_vgpr, 12
	.set _ZN9rocsparseL34csrgemm_symbolic_max_row_nnz_part1ILj256EllEEvT1_PKT0_PS1_.num_agpr, 0
	.set _ZN9rocsparseL34csrgemm_symbolic_max_row_nnz_part1ILj256EllEEvT1_PKT0_PS1_.numbered_sgpr, 12
	.set _ZN9rocsparseL34csrgemm_symbolic_max_row_nnz_part1ILj256EllEEvT1_PKT0_PS1_.num_named_barrier, 0
	.set _ZN9rocsparseL34csrgemm_symbolic_max_row_nnz_part1ILj256EllEEvT1_PKT0_PS1_.private_seg_size, 0
	.set _ZN9rocsparseL34csrgemm_symbolic_max_row_nnz_part1ILj256EllEEvT1_PKT0_PS1_.uses_vcc, 1
	.set _ZN9rocsparseL34csrgemm_symbolic_max_row_nnz_part1ILj256EllEEvT1_PKT0_PS1_.uses_flat_scratch, 0
	.set _ZN9rocsparseL34csrgemm_symbolic_max_row_nnz_part1ILj256EllEEvT1_PKT0_PS1_.has_dyn_sized_stack, 0
	.set _ZN9rocsparseL34csrgemm_symbolic_max_row_nnz_part1ILj256EllEEvT1_PKT0_PS1_.has_recursion, 0
	.set _ZN9rocsparseL34csrgemm_symbolic_max_row_nnz_part1ILj256EllEEvT1_PKT0_PS1_.has_indirect_call, 0
	.section	.AMDGPU.csdata,"",@progbits
; Kernel info:
; codeLenInByte = 768
; TotalNumSgprs: 14
; NumVgprs: 12
; ScratchSize: 0
; MemoryBound: 0
; FloatMode: 240
; IeeeMode: 1
; LDSByteSize: 2048 bytes/workgroup (compile time only)
; SGPRBlocks: 0
; VGPRBlocks: 0
; NumSGPRsForWavesPerEU: 14
; NumVGPRsForWavesPerEU: 12
; NamedBarCnt: 0
; Occupancy: 16
; WaveLimiterHint : 0
; COMPUTE_PGM_RSRC2:SCRATCH_EN: 0
; COMPUTE_PGM_RSRC2:USER_SGPR: 2
; COMPUTE_PGM_RSRC2:TRAP_HANDLER: 0
; COMPUTE_PGM_RSRC2:TGID_X_EN: 1
; COMPUTE_PGM_RSRC2:TGID_Y_EN: 0
; COMPUTE_PGM_RSRC2:TGID_Z_EN: 0
; COMPUTE_PGM_RSRC2:TIDIG_COMP_CNT: 0
	.section	.text._ZN9rocsparseL34csrgemm_symbolic_max_row_nnz_part2ILj256ElEEvPT0_,"axG",@progbits,_ZN9rocsparseL34csrgemm_symbolic_max_row_nnz_part2ILj256ElEEvPT0_,comdat
	.globl	_ZN9rocsparseL34csrgemm_symbolic_max_row_nnz_part2ILj256ElEEvPT0_ ; -- Begin function _ZN9rocsparseL34csrgemm_symbolic_max_row_nnz_part2ILj256ElEEvPT0_
	.p2align	8
	.type	_ZN9rocsparseL34csrgemm_symbolic_max_row_nnz_part2ILj256ElEEvPT0_,@function
_ZN9rocsparseL34csrgemm_symbolic_max_row_nnz_part2ILj256ElEEvPT0_: ; @_ZN9rocsparseL34csrgemm_symbolic_max_row_nnz_part2ILj256ElEEvPT0_
; %bb.0:
	s_load_b64 s[0:1], s[0:1], 0x0
	v_lshlrev_b32_e32 v1, 3, v0
	s_mov_b32 s2, exec_lo
	s_wait_kmcnt 0x0
	global_load_b64 v[2:3], v0, s[0:1] scale_offset
	s_wait_loadcnt 0x0
	ds_store_b64 v1, v[2:3]
	s_wait_dscnt 0x0
	s_barrier_signal -1
	s_barrier_wait -1
	v_cmpx_gt_u32_e32 0x80, v0
	s_cbranch_execz .LBB47_2
; %bb.1:
	ds_load_2addr_stride64_b64 v[2:5], v1 offset1:2
	s_wait_dscnt 0x0
	v_max_i64 v[2:3], v[2:3], v[4:5]
	ds_store_b64 v1, v[2:3]
.LBB47_2:
	s_or_b32 exec_lo, exec_lo, s2
	s_delay_alu instid0(SALU_CYCLE_1)
	s_mov_b32 s2, exec_lo
	s_wait_dscnt 0x0
	s_barrier_signal -1
	s_barrier_wait -1
	v_cmpx_gt_u32_e32 64, v0
	s_cbranch_execz .LBB47_4
; %bb.3:
	ds_load_2addr_stride64_b64 v[2:5], v1 offset1:1
	s_wait_dscnt 0x0
	v_max_i64 v[2:3], v[2:3], v[4:5]
	ds_store_b64 v1, v[2:3]
.LBB47_4:
	s_or_b32 exec_lo, exec_lo, s2
	s_delay_alu instid0(SALU_CYCLE_1)
	s_mov_b32 s2, exec_lo
	s_wait_dscnt 0x0
	s_barrier_signal -1
	s_barrier_wait -1
	v_cmpx_gt_u32_e32 32, v0
	s_cbranch_execz .LBB47_6
; %bb.5:
	ds_load_2addr_b64 v[2:5], v1 offset1:32
	s_wait_dscnt 0x0
	v_max_i64 v[2:3], v[2:3], v[4:5]
	ds_store_b64 v1, v[2:3]
.LBB47_6:
	s_or_b32 exec_lo, exec_lo, s2
	s_delay_alu instid0(SALU_CYCLE_1)
	s_mov_b32 s2, exec_lo
	s_wait_dscnt 0x0
	s_barrier_signal -1
	s_barrier_wait -1
	v_cmpx_gt_u32_e32 16, v0
	s_cbranch_execz .LBB47_8
; %bb.7:
	ds_load_2addr_b64 v[2:5], v1 offset1:16
	s_wait_dscnt 0x0
	v_max_i64 v[2:3], v[2:3], v[4:5]
	ds_store_b64 v1, v[2:3]
.LBB47_8:
	;; [unrolled: 14-line block ×5, first 2 shown]
	s_or_b32 exec_lo, exec_lo, s2
	v_cmp_eq_u32_e32 vcc_lo, 0, v0
	s_wait_dscnt 0x0
	s_barrier_signal -1
	s_barrier_wait -1
	s_and_saveexec_b32 s2, vcc_lo
	s_cbranch_execz .LBB47_16
; %bb.15:
	v_mov_b32_e32 v4, 0
	ds_load_b128 v[0:3], v4
	s_wait_dscnt 0x0
	v_max_i64 v[0:1], v[0:1], v[2:3]
	ds_store_b64 v4, v[0:1]
.LBB47_16:
	s_or_b32 exec_lo, exec_lo, s2
	s_wait_dscnt 0x0
	s_barrier_signal -1
	s_barrier_wait -1
	s_and_saveexec_b32 s2, vcc_lo
	s_cbranch_execz .LBB47_18
; %bb.17:
	v_mov_b32_e32 v2, 0
	ds_load_b64 v[0:1], v2
	s_wait_dscnt 0x0
	global_store_b64 v2, v[0:1], s[0:1]
.LBB47_18:
	s_endpgm
	.section	.rodata,"a",@progbits
	.p2align	6, 0x0
	.amdhsa_kernel _ZN9rocsparseL34csrgemm_symbolic_max_row_nnz_part2ILj256ElEEvPT0_
		.amdhsa_group_segment_fixed_size 2048
		.amdhsa_private_segment_fixed_size 0
		.amdhsa_kernarg_size 8
		.amdhsa_user_sgpr_count 2
		.amdhsa_user_sgpr_dispatch_ptr 0
		.amdhsa_user_sgpr_queue_ptr 0
		.amdhsa_user_sgpr_kernarg_segment_ptr 1
		.amdhsa_user_sgpr_dispatch_id 0
		.amdhsa_user_sgpr_kernarg_preload_length 0
		.amdhsa_user_sgpr_kernarg_preload_offset 0
		.amdhsa_user_sgpr_private_segment_size 0
		.amdhsa_wavefront_size32 1
		.amdhsa_uses_dynamic_stack 0
		.amdhsa_enable_private_segment 0
		.amdhsa_system_sgpr_workgroup_id_x 1
		.amdhsa_system_sgpr_workgroup_id_y 0
		.amdhsa_system_sgpr_workgroup_id_z 0
		.amdhsa_system_sgpr_workgroup_info 0
		.amdhsa_system_vgpr_workitem_id 0
		.amdhsa_next_free_vgpr 6
		.amdhsa_next_free_sgpr 3
		.amdhsa_named_barrier_count 0
		.amdhsa_reserve_vcc 1
		.amdhsa_float_round_mode_32 0
		.amdhsa_float_round_mode_16_64 0
		.amdhsa_float_denorm_mode_32 3
		.amdhsa_float_denorm_mode_16_64 3
		.amdhsa_fp16_overflow 0
		.amdhsa_memory_ordered 1
		.amdhsa_forward_progress 1
		.amdhsa_inst_pref_size 5
		.amdhsa_round_robin_scheduling 0
		.amdhsa_exception_fp_ieee_invalid_op 0
		.amdhsa_exception_fp_denorm_src 0
		.amdhsa_exception_fp_ieee_div_zero 0
		.amdhsa_exception_fp_ieee_overflow 0
		.amdhsa_exception_fp_ieee_underflow 0
		.amdhsa_exception_fp_ieee_inexact 0
		.amdhsa_exception_int_div_zero 0
	.end_amdhsa_kernel
	.section	.text._ZN9rocsparseL34csrgemm_symbolic_max_row_nnz_part2ILj256ElEEvPT0_,"axG",@progbits,_ZN9rocsparseL34csrgemm_symbolic_max_row_nnz_part2ILj256ElEEvPT0_,comdat
.Lfunc_end47:
	.size	_ZN9rocsparseL34csrgemm_symbolic_max_row_nnz_part2ILj256ElEEvPT0_, .Lfunc_end47-_ZN9rocsparseL34csrgemm_symbolic_max_row_nnz_part2ILj256ElEEvPT0_
                                        ; -- End function
	.set _ZN9rocsparseL34csrgemm_symbolic_max_row_nnz_part2ILj256ElEEvPT0_.num_vgpr, 6
	.set _ZN9rocsparseL34csrgemm_symbolic_max_row_nnz_part2ILj256ElEEvPT0_.num_agpr, 0
	.set _ZN9rocsparseL34csrgemm_symbolic_max_row_nnz_part2ILj256ElEEvPT0_.numbered_sgpr, 3
	.set _ZN9rocsparseL34csrgemm_symbolic_max_row_nnz_part2ILj256ElEEvPT0_.num_named_barrier, 0
	.set _ZN9rocsparseL34csrgemm_symbolic_max_row_nnz_part2ILj256ElEEvPT0_.private_seg_size, 0
	.set _ZN9rocsparseL34csrgemm_symbolic_max_row_nnz_part2ILj256ElEEvPT0_.uses_vcc, 1
	.set _ZN9rocsparseL34csrgemm_symbolic_max_row_nnz_part2ILj256ElEEvPT0_.uses_flat_scratch, 0
	.set _ZN9rocsparseL34csrgemm_symbolic_max_row_nnz_part2ILj256ElEEvPT0_.has_dyn_sized_stack, 0
	.set _ZN9rocsparseL34csrgemm_symbolic_max_row_nnz_part2ILj256ElEEvPT0_.has_recursion, 0
	.set _ZN9rocsparseL34csrgemm_symbolic_max_row_nnz_part2ILj256ElEEvPT0_.has_indirect_call, 0
	.section	.AMDGPU.csdata,"",@progbits
; Kernel info:
; codeLenInByte = 572
; TotalNumSgprs: 5
; NumVgprs: 6
; ScratchSize: 0
; MemoryBound: 0
; FloatMode: 240
; IeeeMode: 1
; LDSByteSize: 2048 bytes/workgroup (compile time only)
; SGPRBlocks: 0
; VGPRBlocks: 0
; NumSGPRsForWavesPerEU: 5
; NumVGPRsForWavesPerEU: 6
; NamedBarCnt: 0
; Occupancy: 16
; WaveLimiterHint : 0
; COMPUTE_PGM_RSRC2:SCRATCH_EN: 0
; COMPUTE_PGM_RSRC2:USER_SGPR: 2
; COMPUTE_PGM_RSRC2:TRAP_HANDLER: 0
; COMPUTE_PGM_RSRC2:TGID_X_EN: 1
; COMPUTE_PGM_RSRC2:TGID_Y_EN: 0
; COMPUTE_PGM_RSRC2:TGID_Z_EN: 0
; COMPUTE_PGM_RSRC2:TIDIG_COMP_CNT: 0
	.section	.text._ZN9rocsparseL35csrgemm_symbolic_group_reduce_part2ILj256ELj11EllEEvT2_PKT1_PS1_Pij,"axG",@progbits,_ZN9rocsparseL35csrgemm_symbolic_group_reduce_part2ILj256ELj11EllEEvT2_PKT1_PS1_Pij,comdat
	.globl	_ZN9rocsparseL35csrgemm_symbolic_group_reduce_part2ILj256ELj11EllEEvT2_PKT1_PS1_Pij ; -- Begin function _ZN9rocsparseL35csrgemm_symbolic_group_reduce_part2ILj256ELj11EllEEvT2_PKT1_PS1_Pij
	.p2align	8
	.type	_ZN9rocsparseL35csrgemm_symbolic_group_reduce_part2ILj256ELj11EllEEvT2_PKT1_PS1_Pij,@function
_ZN9rocsparseL35csrgemm_symbolic_group_reduce_part2ILj256ELj11EllEEvT2_PKT1_PS1_Pij: ; @_ZN9rocsparseL35csrgemm_symbolic_group_reduce_part2ILj256ELj11EllEEvT2_PKT1_PS1_Pij
; %bb.0:
	s_bfe_u32 s2, ttmp6, 0x4000c
	s_and_b32 s3, ttmp6, 15
	s_add_co_i32 s2, s2, 1
	s_load_b64 s[4:5], s[0:1], 0x0
	s_mul_i32 s2, ttmp9, s2
	s_getreg_b32 s6, hwreg(HW_REG_IB_STS2, 6, 4)
	s_add_co_i32 s7, s3, s2
	s_load_b64 s[2:3], s[0:1], 0x10
	s_cmp_eq_u32 s6, 0
	v_mov_b32_e32 v3, 0
	s_cselect_b32 s10, ttmp9, s7
	s_mov_b32 s7, 0
	v_lshl_or_b32 v2, s10, 8, v0
	s_mov_b32 s6, s7
	s_mov_b32 s8, s7
	;; [unrolled: 1-line block ×3, first 2 shown]
	v_mov_b64_e32 v[4:5], s[6:7]
	v_mov_b64_e32 v[6:7], s[8:9]
	v_mul_u32_u24_e32 v1, 0x58, v0
	v_mov_b64_e32 v[8:9], 0
	s_mov_b32 s11, exec_lo
	ds_store_2addr_b64 v1, v[4:5], v[6:7] offset1:1
	ds_store_2addr_b64 v1, v[4:5], v[6:7] offset0:2 offset1:3
	ds_store_2addr_b64 v1, v[4:5], v[6:7] offset0:4 offset1:5
	ds_store_2addr_b64 v1, v[4:5], v[6:7] offset0:6 offset1:7
	ds_store_2addr_b64 v1, v[4:5], v[6:7] offset0:8 offset1:9
	ds_store_b64 v1, v[8:9] offset:80
	s_wait_dscnt 0x0
	s_wait_kmcnt 0x0
	v_cmpx_gt_i64_e64 s[4:5], v[2:3]
	s_cbranch_execz .LBB48_43
; %bb.1:
	s_clause 0x2
	s_load_b96 s[12:14], s[0:1], 0x18
	s_load_b64 s[8:9], s[0:1], 0x8
	s_load_b32 s6, s[0:1], 0x28
	v_mov_b64_e32 v[4:5], v[2:3]
	v_dual_mov_b32 v12, 6 :: v_dual_mov_b32 v13, 7
	v_dual_mov_b32 v14, 8 :: v_dual_mov_b32 v15, 9
	;; [unrolled: 1-line block ×5, first 2 shown]
	s_wait_kmcnt 0x0
	s_cmp_lt_u32 s14, 0x8108
	v_lshl_add_u64 v[6:7], v[2:3], 2, s[12:13]
	s_cselect_b32 s0, -1, 0
	s_cmp_lt_u32 s14, 0x10108
	v_lshl_add_u64 v[8:9], v[2:3], 3, s[8:9]
	s_cselect_b32 s1, -1, 0
	s_cmp_lt_u32 s14, 0x20108
	s_cselect_b32 s15, -1, 0
	s_cmp_lt_u32 s14, 0x40108
	s_cselect_b32 s16, -1, 0
	s_lshl_b32 s6, s6, 8
	s_xor_b32 s12, s0, -1
	s_xor_b32 s13, s1, -1
	s_xor_b32 s14, s15, -1
	s_lshl_b64 s[0:1], s[6:7], 2
	s_lshl_b64 s[8:9], s[6:7], 3
	s_xor_b32 s15, s16, -1
	s_mov_b32 s16, s7
	s_branch .LBB48_3
.LBB48_2:                               ;   in Loop: Header=BB48_3 Depth=1
	s_wait_xcnt 0x0
	s_or_b32 exec_lo, exec_lo, s17
	v_add_nc_u64_e32 v[4:5], s[6:7], v[4:5]
	v_add_nc_u64_e32 v[6:7], s[0:1], v[6:7]
	;; [unrolled: 1-line block ×3, first 2 shown]
	s_delay_alu instid0(VALU_DEP_3) | instskip(SKIP_1) | instid1(SALU_CYCLE_1)
	v_cmp_le_i64_e32 vcc_lo, s[4:5], v[4:5]
	s_or_b32 s16, vcc_lo, s16
	s_and_not1_b32 exec_lo, exec_lo, s16
	s_cbranch_execz .LBB48_43
.LBB48_3:                               ; =>This Inner Loop Header: Depth=1
	global_load_b128 v[22:25], v[8:9], off
	s_mov_b32 s17, exec_lo
	s_wait_loadcnt 0x0
	v_sub_nc_u64_e32 v[10:11], v[24:25], v[22:23]
	s_wait_xcnt 0x0
	s_delay_alu instid0(VALU_DEP_1)
	v_cmpx_lt_i64_e32 16, v[10:11]
	s_xor_b32 s17, exec_lo, s17
	s_cbranch_execz .LBB48_41
; %bb.4:                                ;   in Loop: Header=BB48_3 Depth=1
	s_mov_b32 s18, exec_lo
	v_cmpx_lt_u64_e32 32, v[10:11]
	s_xor_b32 s18, exec_lo, s18
	s_cbranch_execz .LBB48_38
; %bb.5:                                ;   in Loop: Header=BB48_3 Depth=1
	s_mov_b32 s19, exec_lo
	v_cmpx_lt_u64_e32 0x100, v[10:11]
	;; [unrolled: 5-line block ×5, first 2 shown]
	s_xor_b32 s22, exec_lo, s22
	s_cbranch_execz .LBB48_26
; %bb.9:                                ;   in Loop: Header=BB48_3 Depth=1
	v_cmp_gt_u64_e32 vcc_lo, 0x1001, v[10:11]
	s_and_b32 s23, s12, vcc_lo
	s_delay_alu instid0(SALU_CYCLE_1) | instskip(NEXT) | instid1(SALU_CYCLE_1)
	s_and_saveexec_b32 s24, s23
	s_xor_b32 s23, exec_lo, s24
	s_cbranch_execz .LBB48_11
; %bb.10:                               ;   in Loop: Header=BB48_3 Depth=1
	ds_load_b64 v[10:11], v1 offset:48
	global_store_b32 v[6:7], v12, off
	s_wait_dscnt 0x0
	v_add_nc_u64_e32 v[10:11], 1, v[10:11]
	ds_store_b64 v1, v[10:11] offset:48
                                        ; implicit-def: $vgpr10_vgpr11
.LBB48_11:                              ;   in Loop: Header=BB48_3 Depth=1
	s_wait_xcnt 0x0
	s_and_not1_saveexec_b32 s23, s23
	s_cbranch_execz .LBB48_25
; %bb.12:                               ;   in Loop: Header=BB48_3 Depth=1
	v_cmp_gt_u64_e32 vcc_lo, 0x2001, v[10:11]
	s_and_b32 s24, s13, vcc_lo
	s_delay_alu instid0(SALU_CYCLE_1) | instskip(NEXT) | instid1(SALU_CYCLE_1)
	s_and_saveexec_b32 s25, s24
	s_xor_b32 s24, exec_lo, s25
	s_cbranch_execz .LBB48_14
; %bb.13:                               ;   in Loop: Header=BB48_3 Depth=1
	ds_load_b64 v[10:11], v1 offset:56
	global_store_b32 v[6:7], v13, off
	s_wait_dscnt 0x0
	v_add_nc_u64_e32 v[10:11], 1, v[10:11]
	ds_store_b64 v1, v[10:11] offset:56
                                        ; implicit-def: $vgpr10_vgpr11
.LBB48_14:                              ;   in Loop: Header=BB48_3 Depth=1
	s_wait_xcnt 0x0
	s_and_not1_saveexec_b32 s24, s24
	s_cbranch_execz .LBB48_24
; %bb.15:                               ;   in Loop: Header=BB48_3 Depth=1
	;; [unrolled: 18-line block ×3, first 2 shown]
	v_cmp_gt_u64_e32 vcc_lo, 0x8001, v[10:11]
	s_and_b32 s26, s15, vcc_lo
	s_delay_alu instid0(SALU_CYCLE_1) | instskip(NEXT) | instid1(SALU_CYCLE_1)
	s_and_saveexec_b32 s27, s26
	s_xor_b32 s26, exec_lo, s27
	s_cbranch_execz .LBB48_20
; %bb.19:                               ;   in Loop: Header=BB48_3 Depth=1
	ds_load_b64 v[10:11], v1 offset:72
	global_store_b32 v[6:7], v15, off
	s_wait_dscnt 0x0
	v_add_nc_u64_e32 v[10:11], 1, v[10:11]
	ds_store_b64 v1, v[10:11] offset:72
.LBB48_20:                              ;   in Loop: Header=BB48_3 Depth=1
	s_wait_xcnt 0x0
	s_and_not1_saveexec_b32 s26, s26
	s_cbranch_execz .LBB48_22
; %bb.21:                               ;   in Loop: Header=BB48_3 Depth=1
	ds_load_b64 v[10:11], v1 offset:80
	global_store_b32 v[6:7], v16, off
	s_wait_dscnt 0x0
	v_add_nc_u64_e32 v[10:11], 1, v[10:11]
	ds_store_b64 v1, v[10:11] offset:80
.LBB48_22:                              ;   in Loop: Header=BB48_3 Depth=1
	s_wait_xcnt 0x0
	s_or_b32 exec_lo, exec_lo, s26
.LBB48_23:                              ;   in Loop: Header=BB48_3 Depth=1
	s_delay_alu instid0(SALU_CYCLE_1)
	s_or_b32 exec_lo, exec_lo, s25
.LBB48_24:                              ;   in Loop: Header=BB48_3 Depth=1
	s_delay_alu instid0(SALU_CYCLE_1)
	s_or_b32 exec_lo, exec_lo, s24
.LBB48_25:                              ;   in Loop: Header=BB48_3 Depth=1
	s_delay_alu instid0(SALU_CYCLE_1)
	s_or_b32 exec_lo, exec_lo, s23
.LBB48_26:                              ;   in Loop: Header=BB48_3 Depth=1
	s_and_not1_saveexec_b32 s22, s22
	s_cbranch_execz .LBB48_28
; %bb.27:                               ;   in Loop: Header=BB48_3 Depth=1
	ds_load_b64 v[10:11], v1 offset:40
	global_store_b32 v[6:7], v17, off
	s_wait_dscnt 0x0
	v_add_nc_u64_e32 v[10:11], 1, v[10:11]
	ds_store_b64 v1, v[10:11] offset:40
.LBB48_28:                              ;   in Loop: Header=BB48_3 Depth=1
	s_wait_xcnt 0x0
	s_or_b32 exec_lo, exec_lo, s22
.LBB48_29:                              ;   in Loop: Header=BB48_3 Depth=1
	s_and_not1_saveexec_b32 s21, s21
	s_cbranch_execz .LBB48_31
; %bb.30:                               ;   in Loop: Header=BB48_3 Depth=1
	ds_load_b64 v[10:11], v1 offset:32
	global_store_b32 v[6:7], v18, off
	s_wait_dscnt 0x0
	v_add_nc_u64_e32 v[10:11], 1, v[10:11]
	ds_store_b64 v1, v[10:11] offset:32
.LBB48_31:                              ;   in Loop: Header=BB48_3 Depth=1
	s_wait_xcnt 0x0
	s_or_b32 exec_lo, exec_lo, s21
.LBB48_32:                              ;   in Loop: Header=BB48_3 Depth=1
	s_and_not1_saveexec_b32 s20, s20
	s_cbranch_execz .LBB48_34
; %bb.33:                               ;   in Loop: Header=BB48_3 Depth=1
	ds_load_b64 v[10:11], v1 offset:24
	global_store_b32 v[6:7], v19, off
	s_wait_dscnt 0x0
	v_add_nc_u64_e32 v[10:11], 1, v[10:11]
	ds_store_b64 v1, v[10:11] offset:24
.LBB48_34:                              ;   in Loop: Header=BB48_3 Depth=1
	s_wait_xcnt 0x0
	s_or_b32 exec_lo, exec_lo, s20
.LBB48_35:                              ;   in Loop: Header=BB48_3 Depth=1
	s_and_not1_saveexec_b32 s19, s19
	s_cbranch_execz .LBB48_37
; %bb.36:                               ;   in Loop: Header=BB48_3 Depth=1
	ds_load_b64 v[10:11], v1 offset:16
	global_store_b32 v[6:7], v20, off
	s_wait_dscnt 0x0
	v_add_nc_u64_e32 v[10:11], 1, v[10:11]
	ds_store_b64 v1, v[10:11] offset:16
.LBB48_37:                              ;   in Loop: Header=BB48_3 Depth=1
	s_wait_xcnt 0x0
	s_or_b32 exec_lo, exec_lo, s19
.LBB48_38:                              ;   in Loop: Header=BB48_3 Depth=1
	s_and_not1_saveexec_b32 s18, s18
	s_cbranch_execz .LBB48_40
; %bb.39:                               ;   in Loop: Header=BB48_3 Depth=1
	ds_load_b64 v[10:11], v1 offset:8
	global_store_b32 v[6:7], v21, off
	s_wait_dscnt 0x0
	v_add_nc_u64_e32 v[10:11], 1, v[10:11]
	ds_store_b64 v1, v[10:11] offset:8
.LBB48_40:                              ;   in Loop: Header=BB48_3 Depth=1
	s_wait_xcnt 0x0
	s_or_b32 exec_lo, exec_lo, s18
.LBB48_41:                              ;   in Loop: Header=BB48_3 Depth=1
	s_and_not1_saveexec_b32 s17, s17
	s_cbranch_execz .LBB48_2
; %bb.42:                               ;   in Loop: Header=BB48_3 Depth=1
	ds_load_b64 v[10:11], v1
	global_store_b32 v[6:7], v3, off
	s_wait_dscnt 0x0
	v_add_nc_u64_e32 v[10:11], 1, v[10:11]
	ds_store_b64 v1, v[10:11]
	s_branch .LBB48_2
.LBB48_43:
	s_or_b32 exec_lo, exec_lo, s11
	s_delay_alu instid0(SALU_CYCLE_1)
	s_mov_b32 s0, exec_lo
	s_wait_storecnt_dscnt 0x0
	s_barrier_signal -1
	s_barrier_wait -1
	s_barrier_signal -1
	s_barrier_wait -1
	;; [unrolled: 2-line block ×3, first 2 shown]
	v_cmpx_gt_u32_e32 0x80, v0
	s_cbranch_execz .LBB48_45
; %bb.44:
	v_add_nc_u32_e32 v10, 0x2c00, v1
	v_add_nc_u32_e32 v14, 0x2c10, v1
	;; [unrolled: 1-line block ×5, first 2 shown]
	ds_load_2addr_b64 v[2:5], v1 offset1:1
	ds_load_2addr_b64 v[6:9], v1 offset0:2 offset1:3
	ds_load_2addr_b64 v[10:13], v10 offset1:1
	ds_load_2addr_b64 v[14:17], v14 offset1:1
	ds_load_2addr_b64 v[18:21], v18 offset1:1
	ds_load_2addr_b64 v[22:25], v1 offset0:4 offset1:5
	ds_load_2addr_b64 v[26:29], v1 offset0:6 offset1:7
	v_add_nc_u32_e32 v42, 0x50, v1
	ds_load_2addr_b64 v[30:33], v30 offset1:1
	ds_load_2addr_b64 v[34:37], v34 offset1:1
	ds_load_2addr_b64 v[38:41], v1 offset0:8 offset1:9
	ds_load_2addr_stride64_b64 v[42:45], v42 offset1:22
	s_wait_dscnt 0x8
	v_add_nc_u64_e32 v[2:3], v[2:3], v[10:11]
	v_add_nc_u64_e32 v[4:5], v[4:5], v[12:13]
	s_wait_dscnt 0x7
	v_add_nc_u64_e32 v[6:7], v[6:7], v[14:15]
	v_add_nc_u64_e32 v[8:9], v[8:9], v[16:17]
	;; [unrolled: 3-line block ×5, first 2 shown]
	s_wait_dscnt 0x0
	v_add_nc_u64_e32 v[22:23], v[42:43], v[44:45]
	ds_store_2addr_b64 v1, v[2:3], v[4:5] offset1:1
	ds_store_2addr_b64 v1, v[6:7], v[8:9] offset0:2 offset1:3
	ds_store_2addr_b64 v1, v[10:11], v[12:13] offset0:4 offset1:5
	ds_store_2addr_b64 v1, v[14:15], v[16:17] offset0:6 offset1:7
	ds_store_2addr_b64 v1, v[18:19], v[20:21] offset0:8 offset1:9
	ds_store_b64 v1, v[22:23] offset:80
.LBB48_45:
	s_or_b32 exec_lo, exec_lo, s0
	s_delay_alu instid0(SALU_CYCLE_1)
	s_mov_b32 s0, exec_lo
	s_wait_dscnt 0x0
	s_barrier_signal -1
	s_barrier_wait -1
	v_cmpx_gt_u32_e32 64, v0
	s_cbranch_execz .LBB48_47
; %bb.46:
	v_add_nc_u32_e32 v10, 0x1600, v1
	v_add_nc_u32_e32 v14, 0x1610, v1
	;; [unrolled: 1-line block ×5, first 2 shown]
	ds_load_2addr_b64 v[2:5], v1 offset1:1
	ds_load_2addr_b64 v[6:9], v1 offset0:2 offset1:3
	ds_load_2addr_b64 v[10:13], v10 offset1:1
	ds_load_2addr_b64 v[14:17], v14 offset1:1
	;; [unrolled: 1-line block ×3, first 2 shown]
	ds_load_2addr_b64 v[22:25], v1 offset0:4 offset1:5
	ds_load_2addr_b64 v[26:29], v1 offset0:6 offset1:7
	v_add_nc_u32_e32 v42, 0x50, v1
	ds_load_2addr_b64 v[30:33], v30 offset1:1
	ds_load_2addr_b64 v[34:37], v34 offset1:1
	ds_load_2addr_b64 v[38:41], v1 offset0:8 offset1:9
	ds_load_2addr_stride64_b64 v[42:45], v42 offset1:11
	s_wait_dscnt 0x8
	v_add_nc_u64_e32 v[2:3], v[2:3], v[10:11]
	v_add_nc_u64_e32 v[4:5], v[4:5], v[12:13]
	s_wait_dscnt 0x7
	v_add_nc_u64_e32 v[6:7], v[6:7], v[14:15]
	v_add_nc_u64_e32 v[8:9], v[8:9], v[16:17]
	;; [unrolled: 3-line block ×5, first 2 shown]
	s_wait_dscnt 0x0
	v_add_nc_u64_e32 v[22:23], v[42:43], v[44:45]
	ds_store_2addr_b64 v1, v[2:3], v[4:5] offset1:1
	ds_store_2addr_b64 v1, v[6:7], v[8:9] offset0:2 offset1:3
	ds_store_2addr_b64 v1, v[10:11], v[12:13] offset0:4 offset1:5
	ds_store_2addr_b64 v1, v[14:15], v[16:17] offset0:6 offset1:7
	ds_store_2addr_b64 v1, v[18:19], v[20:21] offset0:8 offset1:9
	ds_store_b64 v1, v[22:23] offset:80
.LBB48_47:
	s_or_b32 exec_lo, exec_lo, s0
	s_delay_alu instid0(SALU_CYCLE_1)
	s_mov_b32 s0, exec_lo
	s_wait_dscnt 0x0
	s_barrier_signal -1
	s_barrier_wait -1
	v_cmpx_gt_u32_e32 32, v0
	s_cbranch_execz .LBB48_49
; %bb.48:
	v_add_nc_u32_e32 v10, 0xb00, v1
	v_add_nc_u32_e32 v14, 0xb10, v1
	ds_load_2addr_b64 v[2:5], v1 offset1:1
	ds_load_2addr_b64 v[6:9], v1 offset0:2 offset1:3
	v_add_nc_u32_e32 v18, 0xb20, v1
	v_add_nc_u32_e32 v30, 0xb30, v1
	ds_load_2addr_b64 v[10:13], v10 offset1:1
	v_add_nc_u32_e32 v34, 0xb40, v1
	ds_load_2addr_b64 v[14:17], v14 offset1:1
	ds_load_2addr_b64 v[18:21], v18 offset1:1
	ds_load_2addr_b64 v[22:25], v1 offset0:4 offset1:5
	ds_load_2addr_b64 v[26:29], v1 offset0:6 offset1:7
	ds_load_2addr_b64 v[30:33], v30 offset1:1
	ds_load_2addr_b64 v[34:37], v34 offset1:1
	ds_load_2addr_b64 v[38:41], v1 offset0:8 offset1:9
	ds_load_b64 v[42:43], v1 offset:80
	ds_load_b64 v[44:45], v1 offset:2896
	s_wait_dscnt 0x8
	v_add_nc_u64_e32 v[6:7], v[6:7], v[14:15]
	v_add_nc_u64_e32 v[8:9], v[8:9], v[16:17]
	s_wait_dscnt 0x4
	v_add_nc_u64_e32 v[14:15], v[26:27], v[30:31]
	v_add_nc_u64_e32 v[2:3], v[2:3], v[10:11]
	;; [unrolled: 1-line block ×6, first 2 shown]
	s_wait_dscnt 0x2
	v_add_nc_u64_e32 v[18:19], v[38:39], v[34:35]
	v_add_nc_u64_e32 v[20:21], v[40:41], v[36:37]
	s_wait_dscnt 0x0
	v_add_nc_u64_e32 v[22:23], v[42:43], v[44:45]
	ds_store_2addr_b64 v1, v[2:3], v[4:5] offset1:1
	ds_store_2addr_b64 v1, v[6:7], v[8:9] offset0:2 offset1:3
	ds_store_2addr_b64 v1, v[10:11], v[12:13] offset0:4 offset1:5
	;; [unrolled: 1-line block ×4, first 2 shown]
	ds_store_b64 v1, v[22:23] offset:80
.LBB48_49:
	s_or_b32 exec_lo, exec_lo, s0
	s_delay_alu instid0(SALU_CYCLE_1)
	s_mov_b32 s0, exec_lo
	s_wait_dscnt 0x0
	s_barrier_signal -1
	s_barrier_wait -1
	v_cmpx_gt_u32_e32 16, v0
	s_cbranch_execz .LBB48_51
; %bb.50:
	ds_load_2addr_b64 v[2:5], v1 offset0:176 offset1:177
	ds_load_2addr_b64 v[6:9], v1 offset1:1
	ds_load_2addr_b64 v[10:13], v1 offset0:2 offset1:3
	ds_load_2addr_b64 v[14:17], v1 offset0:178 offset1:179
	ds_load_2addr_b64 v[18:21], v1 offset0:180 offset1:181
	ds_load_2addr_b64 v[22:25], v1 offset0:4 offset1:5
	ds_load_2addr_b64 v[26:29], v1 offset0:6 offset1:7
	ds_load_2addr_b64 v[30:33], v1 offset0:182 offset1:183
	ds_load_2addr_b64 v[34:37], v1 offset0:184 offset1:185
	ds_load_2addr_b64 v[38:41], v1 offset0:8 offset1:9
	ds_load_2addr_b64 v[42:45], v1 offset0:10 offset1:186
	s_wait_dscnt 0x9
	v_add_nc_u64_e32 v[2:3], v[6:7], v[2:3]
	v_add_nc_u64_e32 v[4:5], v[8:9], v[4:5]
	s_wait_dscnt 0x7
	v_add_nc_u64_e32 v[6:7], v[10:11], v[14:15]
	v_add_nc_u64_e32 v[8:9], v[12:13], v[16:17]
	s_wait_dscnt 0x5
	v_add_nc_u64_e32 v[10:11], v[22:23], v[18:19]
	v_add_nc_u64_e32 v[12:13], v[24:25], v[20:21]
	s_wait_dscnt 0x3
	v_add_nc_u64_e32 v[14:15], v[26:27], v[30:31]
	v_add_nc_u64_e32 v[16:17], v[28:29], v[32:33]
	s_wait_dscnt 0x1
	v_add_nc_u64_e32 v[18:19], v[38:39], v[34:35]
	v_add_nc_u64_e32 v[20:21], v[40:41], v[36:37]
	s_wait_dscnt 0x0
	v_add_nc_u64_e32 v[22:23], v[42:43], v[44:45]
	ds_store_2addr_b64 v1, v[2:3], v[4:5] offset1:1
	ds_store_2addr_b64 v1, v[6:7], v[8:9] offset0:2 offset1:3
	ds_store_2addr_b64 v1, v[10:11], v[12:13] offset0:4 offset1:5
	ds_store_2addr_b64 v1, v[14:15], v[16:17] offset0:6 offset1:7
	ds_store_2addr_b64 v1, v[18:19], v[20:21] offset0:8 offset1:9
	ds_store_b64 v1, v[22:23] offset:80
.LBB48_51:
	s_or_b32 exec_lo, exec_lo, s0
	s_delay_alu instid0(SALU_CYCLE_1)
	s_mov_b32 s0, exec_lo
	s_wait_dscnt 0x0
	s_barrier_signal -1
	s_barrier_wait -1
	v_cmpx_gt_u32_e32 8, v0
	s_cbranch_execz .LBB48_53
; %bb.52:
	ds_load_2addr_b64 v[2:5], v1 offset0:88 offset1:89
	ds_load_2addr_b64 v[6:9], v1 offset1:1
	ds_load_2addr_b64 v[10:13], v1 offset0:2 offset1:3
	ds_load_2addr_b64 v[14:17], v1 offset0:90 offset1:91
	ds_load_2addr_b64 v[18:21], v1 offset0:92 offset1:93
	ds_load_2addr_b64 v[22:25], v1 offset0:4 offset1:5
	ds_load_2addr_b64 v[26:29], v1 offset0:6 offset1:7
	ds_load_2addr_b64 v[30:33], v1 offset0:94 offset1:95
	ds_load_2addr_b64 v[34:37], v1 offset0:96 offset1:97
	ds_load_2addr_b64 v[38:41], v1 offset0:8 offset1:9
	ds_load_2addr_b64 v[42:45], v1 offset0:10 offset1:98
	s_wait_dscnt 0x9
	v_add_nc_u64_e32 v[2:3], v[6:7], v[2:3]
	v_add_nc_u64_e32 v[4:5], v[8:9], v[4:5]
	s_wait_dscnt 0x7
	v_add_nc_u64_e32 v[6:7], v[10:11], v[14:15]
	v_add_nc_u64_e32 v[8:9], v[12:13], v[16:17]
	s_wait_dscnt 0x5
	v_add_nc_u64_e32 v[10:11], v[22:23], v[18:19]
	v_add_nc_u64_e32 v[12:13], v[24:25], v[20:21]
	s_wait_dscnt 0x3
	v_add_nc_u64_e32 v[14:15], v[26:27], v[30:31]
	v_add_nc_u64_e32 v[16:17], v[28:29], v[32:33]
	s_wait_dscnt 0x1
	v_add_nc_u64_e32 v[18:19], v[38:39], v[34:35]
	v_add_nc_u64_e32 v[20:21], v[40:41], v[36:37]
	s_wait_dscnt 0x0
	v_add_nc_u64_e32 v[22:23], v[42:43], v[44:45]
	ds_store_2addr_b64 v1, v[2:3], v[4:5] offset1:1
	ds_store_2addr_b64 v1, v[6:7], v[8:9] offset0:2 offset1:3
	ds_store_2addr_b64 v1, v[10:11], v[12:13] offset0:4 offset1:5
	ds_store_2addr_b64 v1, v[14:15], v[16:17] offset0:6 offset1:7
	ds_store_2addr_b64 v1, v[18:19], v[20:21] offset0:8 offset1:9
	ds_store_b64 v1, v[22:23] offset:80
.LBB48_53:
	;; [unrolled: 44-line block ×4, first 2 shown]
	s_or_b32 exec_lo, exec_lo, s0
	s_delay_alu instid0(SALU_CYCLE_1)
	s_mov_b32 s0, exec_lo
	s_wait_dscnt 0x0
	s_barrier_signal -1
	s_barrier_wait -1
	v_cmpx_eq_u32_e32 0, v0
	s_cbranch_execz .LBB48_59
; %bb.58:
	v_mov_b32_e32 v1, 0
	ds_load_b128 v[2:5], v1 offset:80
	ds_load_b128 v[6:9], v1
	ds_load_b128 v[10:13], v1 offset:96
	ds_load_b128 v[14:17], v1 offset:16
	;; [unrolled: 1-line block ×9, first 2 shown]
	s_wait_dscnt 0x9
	v_add_nc_u64_e32 v[4:5], v[6:7], v[4:5]
	s_wait_dscnt 0x8
	v_add_nc_u64_e32 v[6:7], v[8:9], v[10:11]
	;; [unrolled: 2-line block ×10, first 2 shown]
	v_add_nc_u64_e32 v[2:3], v[2:3], v[44:45]
	ds_store_b128 v1, v[4:7]
	ds_store_b128 v1, v[8:11] offset:16
	ds_store_b128 v1, v[12:15] offset:32
	;; [unrolled: 1-line block ×4, first 2 shown]
	ds_store_b64 v1, v[2:3] offset:80
.LBB48_59:
	s_or_b32 exec_lo, exec_lo, s0
	s_wait_dscnt 0x0
	s_barrier_signal -1
	s_barrier_wait -1
	s_mov_b32 s0, exec_lo
	v_cmpx_gt_u32_e32 11, v0
	s_cbranch_execz .LBB48_61
; %bb.60:
	v_lshlrev_b32_e32 v1, 3, v0
	v_mad_u32 v0, s10, 11, v0
	ds_load_b64 v[2:3], v1
	s_wait_dscnt 0x0
	global_store_b64 v0, v[2:3], s[2:3] scale_offset
.LBB48_61:
	s_endpgm
	.section	.rodata,"a",@progbits
	.p2align	6, 0x0
	.amdhsa_kernel _ZN9rocsparseL35csrgemm_symbolic_group_reduce_part2ILj256ELj11EllEEvT2_PKT1_PS1_Pij
		.amdhsa_group_segment_fixed_size 22528
		.amdhsa_private_segment_fixed_size 0
		.amdhsa_kernarg_size 296
		.amdhsa_user_sgpr_count 2
		.amdhsa_user_sgpr_dispatch_ptr 0
		.amdhsa_user_sgpr_queue_ptr 0
		.amdhsa_user_sgpr_kernarg_segment_ptr 1
		.amdhsa_user_sgpr_dispatch_id 0
		.amdhsa_user_sgpr_kernarg_preload_length 0
		.amdhsa_user_sgpr_kernarg_preload_offset 0
		.amdhsa_user_sgpr_private_segment_size 0
		.amdhsa_wavefront_size32 1
		.amdhsa_uses_dynamic_stack 0
		.amdhsa_enable_private_segment 0
		.amdhsa_system_sgpr_workgroup_id_x 1
		.amdhsa_system_sgpr_workgroup_id_y 0
		.amdhsa_system_sgpr_workgroup_id_z 0
		.amdhsa_system_sgpr_workgroup_info 0
		.amdhsa_system_vgpr_workitem_id 0
		.amdhsa_next_free_vgpr 46
		.amdhsa_next_free_sgpr 28
		.amdhsa_named_barrier_count 0
		.amdhsa_reserve_vcc 1
		.amdhsa_float_round_mode_32 0
		.amdhsa_float_round_mode_16_64 0
		.amdhsa_float_denorm_mode_32 3
		.amdhsa_float_denorm_mode_16_64 3
		.amdhsa_fp16_overflow 0
		.amdhsa_memory_ordered 1
		.amdhsa_forward_progress 1
		.amdhsa_inst_pref_size 27
		.amdhsa_round_robin_scheduling 0
		.amdhsa_exception_fp_ieee_invalid_op 0
		.amdhsa_exception_fp_denorm_src 0
		.amdhsa_exception_fp_ieee_div_zero 0
		.amdhsa_exception_fp_ieee_overflow 0
		.amdhsa_exception_fp_ieee_underflow 0
		.amdhsa_exception_fp_ieee_inexact 0
		.amdhsa_exception_int_div_zero 0
	.end_amdhsa_kernel
	.section	.text._ZN9rocsparseL35csrgemm_symbolic_group_reduce_part2ILj256ELj11EllEEvT2_PKT1_PS1_Pij,"axG",@progbits,_ZN9rocsparseL35csrgemm_symbolic_group_reduce_part2ILj256ELj11EllEEvT2_PKT1_PS1_Pij,comdat
.Lfunc_end48:
	.size	_ZN9rocsparseL35csrgemm_symbolic_group_reduce_part2ILj256ELj11EllEEvT2_PKT1_PS1_Pij, .Lfunc_end48-_ZN9rocsparseL35csrgemm_symbolic_group_reduce_part2ILj256ELj11EllEEvT2_PKT1_PS1_Pij
                                        ; -- End function
	.set _ZN9rocsparseL35csrgemm_symbolic_group_reduce_part2ILj256ELj11EllEEvT2_PKT1_PS1_Pij.num_vgpr, 46
	.set _ZN9rocsparseL35csrgemm_symbolic_group_reduce_part2ILj256ELj11EllEEvT2_PKT1_PS1_Pij.num_agpr, 0
	.set _ZN9rocsparseL35csrgemm_symbolic_group_reduce_part2ILj256ELj11EllEEvT2_PKT1_PS1_Pij.numbered_sgpr, 28
	.set _ZN9rocsparseL35csrgemm_symbolic_group_reduce_part2ILj256ELj11EllEEvT2_PKT1_PS1_Pij.num_named_barrier, 0
	.set _ZN9rocsparseL35csrgemm_symbolic_group_reduce_part2ILj256ELj11EllEEvT2_PKT1_PS1_Pij.private_seg_size, 0
	.set _ZN9rocsparseL35csrgemm_symbolic_group_reduce_part2ILj256ELj11EllEEvT2_PKT1_PS1_Pij.uses_vcc, 1
	.set _ZN9rocsparseL35csrgemm_symbolic_group_reduce_part2ILj256ELj11EllEEvT2_PKT1_PS1_Pij.uses_flat_scratch, 0
	.set _ZN9rocsparseL35csrgemm_symbolic_group_reduce_part2ILj256ELj11EllEEvT2_PKT1_PS1_Pij.has_dyn_sized_stack, 0
	.set _ZN9rocsparseL35csrgemm_symbolic_group_reduce_part2ILj256ELj11EllEEvT2_PKT1_PS1_Pij.has_recursion, 0
	.set _ZN9rocsparseL35csrgemm_symbolic_group_reduce_part2ILj256ELj11EllEEvT2_PKT1_PS1_Pij.has_indirect_call, 0
	.section	.AMDGPU.csdata,"",@progbits
; Kernel info:
; codeLenInByte = 3340
; TotalNumSgprs: 30
; NumVgprs: 46
; ScratchSize: 0
; MemoryBound: 0
; FloatMode: 240
; IeeeMode: 1
; LDSByteSize: 22528 bytes/workgroup (compile time only)
; SGPRBlocks: 0
; VGPRBlocks: 2
; NumSGPRsForWavesPerEU: 30
; NumVGPRsForWavesPerEU: 46
; NamedBarCnt: 0
; Occupancy: 16
; WaveLimiterHint : 0
; COMPUTE_PGM_RSRC2:SCRATCH_EN: 0
; COMPUTE_PGM_RSRC2:USER_SGPR: 2
; COMPUTE_PGM_RSRC2:TRAP_HANDLER: 0
; COMPUTE_PGM_RSRC2:TGID_X_EN: 1
; COMPUTE_PGM_RSRC2:TGID_Y_EN: 0
; COMPUTE_PGM_RSRC2:TGID_Z_EN: 0
; COMPUTE_PGM_RSRC2:TIDIG_COMP_CNT: 0
	.section	.text._ZN9rocsparseL35csrgemm_symbolic_group_reduce_part3ILj256ELj11ElEEvPT1_,"axG",@progbits,_ZN9rocsparseL35csrgemm_symbolic_group_reduce_part3ILj256ELj11ElEEvPT1_,comdat
	.globl	_ZN9rocsparseL35csrgemm_symbolic_group_reduce_part3ILj256ELj11ElEEvPT1_ ; -- Begin function _ZN9rocsparseL35csrgemm_symbolic_group_reduce_part3ILj256ELj11ElEEvPT1_
	.p2align	8
	.type	_ZN9rocsparseL35csrgemm_symbolic_group_reduce_part3ILj256ELj11ElEEvPT1_,@function
_ZN9rocsparseL35csrgemm_symbolic_group_reduce_part3ILj256ELj11ElEEvPT1_: ; @_ZN9rocsparseL35csrgemm_symbolic_group_reduce_part3ILj256ELj11ElEEvPT1_
; %bb.0:
	s_load_b64 s[0:1], s[0:1], 0x0
	v_dual_mov_b32 v3, 0 :: v_dual_lshlrev_b32 v2, 3, v0
	v_or_b32_e32 v1, 0xffffff00, v0
	s_mov_b32 s2, 0
	s_wait_kmcnt 0x0
	s_delay_alu instid0(VALU_DEP_2)
	v_add_nc_u64_e32 v[4:5], s[0:1], v[2:3]
.LBB49_1:                               ; =>This Inner Loop Header: Depth=1
	global_load_b64 v[6:7], v[4:5], off
	v_add_nc_u32_e32 v1, 0x100, v1
	s_wait_xcnt 0x0
	v_add_nc_u64_e32 v[4:5], 0x800, v[4:5]
	s_delay_alu instid0(VALU_DEP_2)
	v_cmp_lt_u32_e32 vcc_lo, 0x9ff, v1
	s_or_b32 s2, vcc_lo, s2
	s_wait_loadcnt 0x0
	ds_store_b64 v2, v[6:7]
	v_add_nc_u32_e32 v2, 0x800, v2
	s_and_not1_b32 exec_lo, exec_lo, s2
	s_cbranch_execnz .LBB49_1
; %bb.2:
	s_or_b32 exec_lo, exec_lo, s2
	v_mul_u32_u24_e32 v1, 0x58, v0
	s_mov_b32 s2, exec_lo
	s_wait_dscnt 0x0
	s_barrier_signal -1
	s_barrier_wait -1
	s_barrier_signal -1
	s_barrier_wait -1
	;; [unrolled: 2-line block ×3, first 2 shown]
	v_cmpx_gt_u32_e32 0x80, v0
	s_cbranch_execz .LBB49_4
; %bb.3:
	s_movk_i32 s3, 0x2c00
	s_movk_i32 s4, 0x2c10
	v_mad_u32_u24 v6, 0x58, v0, s3
	s_movk_i32 s3, 0x2c20
	v_mad_u32_u24 v10, 0x58, v0, s4
	s_movk_i32 s4, 0x2c30
	v_mad_u32_u24 v22, 0x58, v0, s3
	v_mad_u32_u24 v26, 0x58, v0, s4
	s_movk_i32 s3, 0x2c40
	ds_load_2addr_b64 v[2:5], v1 offset1:1
	ds_load_2addr_b64 v[6:9], v6 offset1:1
	;; [unrolled: 1-line block ×3, first 2 shown]
	v_mad_u32_u24 v34, 0x58, v0, s3
	ds_load_2addr_b64 v[14:17], v1 offset0:2 offset1:3
	ds_load_2addr_b64 v[18:21], v1 offset0:4 offset1:5
	ds_load_2addr_b64 v[22:25], v22 offset1:1
	ds_load_2addr_b64 v[26:29], v26 offset1:1
	v_add_nc_u32_e32 v42, 0x50, v1
	ds_load_2addr_b64 v[30:33], v1 offset0:6 offset1:7
	ds_load_2addr_b64 v[34:37], v34 offset1:1
	ds_load_2addr_b64 v[38:41], v1 offset0:8 offset1:9
	ds_load_2addr_stride64_b64 v[42:45], v42 offset1:22
	s_wait_dscnt 0x9
	v_add_nc_u64_e32 v[2:3], v[2:3], v[6:7]
	v_add_nc_u64_e32 v[4:5], v[4:5], v[8:9]
	s_wait_dscnt 0x7
	v_add_nc_u64_e32 v[6:7], v[14:15], v[10:11]
	v_add_nc_u64_e32 v[8:9], v[16:17], v[12:13]
	;; [unrolled: 3-line block ×5, first 2 shown]
	s_wait_dscnt 0x0
	v_add_nc_u64_e32 v[22:23], v[42:43], v[44:45]
	ds_store_2addr_b64 v1, v[2:3], v[4:5] offset1:1
	ds_store_2addr_b64 v1, v[6:7], v[8:9] offset0:2 offset1:3
	ds_store_2addr_b64 v1, v[10:11], v[12:13] offset0:4 offset1:5
	;; [unrolled: 1-line block ×4, first 2 shown]
	ds_store_b64 v1, v[22:23] offset:80
.LBB49_4:
	s_or_b32 exec_lo, exec_lo, s2
	s_delay_alu instid0(SALU_CYCLE_1)
	s_mov_b32 s2, exec_lo
	s_wait_dscnt 0x0
	s_barrier_signal -1
	s_barrier_wait -1
	v_cmpx_gt_u32_e32 64, v0
	s_cbranch_execz .LBB49_6
; %bb.5:
	s_movk_i32 s3, 0x1600
	s_movk_i32 s4, 0x1610
	v_mad_u32_u24 v6, 0x58, v0, s3
	s_movk_i32 s3, 0x1620
	v_mad_u32_u24 v10, 0x58, v0, s4
	;; [unrolled: 2-line block ×3, first 2 shown]
	v_mad_u32_u24 v26, 0x58, v0, s4
	s_movk_i32 s3, 0x1640
	ds_load_2addr_b64 v[2:5], v1 offset1:1
	ds_load_2addr_b64 v[6:9], v6 offset1:1
	;; [unrolled: 1-line block ×3, first 2 shown]
	v_mad_u32_u24 v34, 0x58, v0, s3
	ds_load_2addr_b64 v[14:17], v1 offset0:2 offset1:3
	ds_load_2addr_b64 v[18:21], v1 offset0:4 offset1:5
	ds_load_2addr_b64 v[22:25], v22 offset1:1
	ds_load_2addr_b64 v[26:29], v26 offset1:1
	v_add_nc_u32_e32 v42, 0x50, v1
	ds_load_2addr_b64 v[30:33], v1 offset0:6 offset1:7
	ds_load_2addr_b64 v[34:37], v34 offset1:1
	ds_load_2addr_b64 v[38:41], v1 offset0:8 offset1:9
	ds_load_2addr_stride64_b64 v[42:45], v42 offset1:11
	s_wait_dscnt 0x9
	v_add_nc_u64_e32 v[2:3], v[2:3], v[6:7]
	v_add_nc_u64_e32 v[4:5], v[4:5], v[8:9]
	s_wait_dscnt 0x7
	v_add_nc_u64_e32 v[6:7], v[14:15], v[10:11]
	v_add_nc_u64_e32 v[8:9], v[16:17], v[12:13]
	;; [unrolled: 3-line block ×5, first 2 shown]
	s_wait_dscnt 0x0
	v_add_nc_u64_e32 v[22:23], v[42:43], v[44:45]
	ds_store_2addr_b64 v1, v[2:3], v[4:5] offset1:1
	ds_store_2addr_b64 v1, v[6:7], v[8:9] offset0:2 offset1:3
	ds_store_2addr_b64 v1, v[10:11], v[12:13] offset0:4 offset1:5
	ds_store_2addr_b64 v1, v[14:15], v[16:17] offset0:6 offset1:7
	ds_store_2addr_b64 v1, v[18:19], v[20:21] offset0:8 offset1:9
	ds_store_b64 v1, v[22:23] offset:80
.LBB49_6:
	s_or_b32 exec_lo, exec_lo, s2
	s_delay_alu instid0(SALU_CYCLE_1)
	s_mov_b32 s2, exec_lo
	s_wait_dscnt 0x0
	s_barrier_signal -1
	s_barrier_wait -1
	v_cmpx_gt_u32_e32 32, v0
	s_cbranch_execz .LBB49_8
; %bb.7:
	s_movk_i32 s3, 0xb00
	s_movk_i32 s4, 0xb10
	v_mad_u32_u24 v6, 0x58, v0, s3
	v_mad_u32_u24 v10, 0x58, v0, s4
	s_movk_i32 s3, 0xb20
	ds_load_2addr_b64 v[2:5], v1 offset1:1
	v_mad_u32_u24 v22, 0x58, v0, s3
	ds_load_2addr_b64 v[6:9], v6 offset1:1
	ds_load_2addr_b64 v[10:13], v10 offset1:1
	s_movk_i32 s3, 0xb30
	s_movk_i32 s4, 0xb40
	v_mad_u32_u24 v26, 0x58, v0, s3
	v_mad_u32_u24 v34, 0x58, v0, s4
	ds_load_2addr_b64 v[14:17], v1 offset0:2 offset1:3
	ds_load_2addr_b64 v[18:21], v1 offset0:4 offset1:5
	ds_load_2addr_b64 v[22:25], v22 offset1:1
	ds_load_2addr_b64 v[26:29], v26 offset1:1
	ds_load_2addr_b64 v[30:33], v1 offset0:6 offset1:7
	ds_load_2addr_b64 v[34:37], v34 offset1:1
	ds_load_2addr_b64 v[38:41], v1 offset0:8 offset1:9
	ds_load_b64 v[42:43], v1 offset:2896
	ds_load_b64 v[44:45], v1 offset:80
	s_wait_dscnt 0xa
	v_add_nc_u64_e32 v[2:3], v[2:3], v[6:7]
	v_add_nc_u64_e32 v[4:5], v[4:5], v[8:9]
	s_wait_dscnt 0x8
	v_add_nc_u64_e32 v[6:7], v[14:15], v[10:11]
	v_add_nc_u64_e32 v[8:9], v[16:17], v[12:13]
	;; [unrolled: 3-line block ×5, first 2 shown]
	s_wait_dscnt 0x0
	v_add_nc_u64_e32 v[22:23], v[44:45], v[42:43]
	ds_store_2addr_b64 v1, v[2:3], v[4:5] offset1:1
	ds_store_2addr_b64 v1, v[6:7], v[8:9] offset0:2 offset1:3
	ds_store_2addr_b64 v1, v[10:11], v[12:13] offset0:4 offset1:5
	ds_store_2addr_b64 v1, v[14:15], v[16:17] offset0:6 offset1:7
	ds_store_2addr_b64 v1, v[18:19], v[20:21] offset0:8 offset1:9
	ds_store_b64 v1, v[22:23] offset:80
.LBB49_8:
	s_or_b32 exec_lo, exec_lo, s2
	s_delay_alu instid0(SALU_CYCLE_1)
	s_mov_b32 s2, exec_lo
	s_wait_dscnt 0x0
	s_barrier_signal -1
	s_barrier_wait -1
	v_cmpx_gt_u32_e32 16, v0
	s_cbranch_execz .LBB49_10
; %bb.9:
	ds_load_2addr_b64 v[2:5], v1 offset0:176 offset1:177
	ds_load_2addr_b64 v[6:9], v1 offset1:1
	ds_load_2addr_b64 v[10:13], v1 offset0:2 offset1:3
	ds_load_2addr_b64 v[14:17], v1 offset0:178 offset1:179
	ds_load_2addr_b64 v[18:21], v1 offset0:180 offset1:181
	ds_load_2addr_b64 v[22:25], v1 offset0:4 offset1:5
	ds_load_2addr_b64 v[26:29], v1 offset0:6 offset1:7
	ds_load_2addr_b64 v[30:33], v1 offset0:182 offset1:183
	ds_load_2addr_b64 v[34:37], v1 offset0:184 offset1:185
	ds_load_2addr_b64 v[38:41], v1 offset0:8 offset1:9
	ds_load_2addr_b64 v[42:45], v1 offset0:10 offset1:186
	s_wait_dscnt 0x9
	v_add_nc_u64_e32 v[2:3], v[6:7], v[2:3]
	v_add_nc_u64_e32 v[4:5], v[8:9], v[4:5]
	s_wait_dscnt 0x7
	v_add_nc_u64_e32 v[6:7], v[10:11], v[14:15]
	v_add_nc_u64_e32 v[8:9], v[12:13], v[16:17]
	s_wait_dscnt 0x5
	v_add_nc_u64_e32 v[10:11], v[22:23], v[18:19]
	v_add_nc_u64_e32 v[12:13], v[24:25], v[20:21]
	s_wait_dscnt 0x3
	v_add_nc_u64_e32 v[14:15], v[26:27], v[30:31]
	v_add_nc_u64_e32 v[16:17], v[28:29], v[32:33]
	s_wait_dscnt 0x1
	v_add_nc_u64_e32 v[18:19], v[38:39], v[34:35]
	v_add_nc_u64_e32 v[20:21], v[40:41], v[36:37]
	s_wait_dscnt 0x0
	v_add_nc_u64_e32 v[22:23], v[42:43], v[44:45]
	ds_store_2addr_b64 v1, v[2:3], v[4:5] offset1:1
	ds_store_2addr_b64 v1, v[6:7], v[8:9] offset0:2 offset1:3
	ds_store_2addr_b64 v1, v[10:11], v[12:13] offset0:4 offset1:5
	ds_store_2addr_b64 v1, v[14:15], v[16:17] offset0:6 offset1:7
	ds_store_2addr_b64 v1, v[18:19], v[20:21] offset0:8 offset1:9
	ds_store_b64 v1, v[22:23] offset:80
.LBB49_10:
	s_or_b32 exec_lo, exec_lo, s2
	s_delay_alu instid0(SALU_CYCLE_1)
	s_mov_b32 s2, exec_lo
	s_wait_dscnt 0x0
	s_barrier_signal -1
	s_barrier_wait -1
	v_cmpx_gt_u32_e32 8, v0
	s_cbranch_execz .LBB49_12
; %bb.11:
	ds_load_2addr_b64 v[2:5], v1 offset0:88 offset1:89
	ds_load_2addr_b64 v[6:9], v1 offset1:1
	ds_load_2addr_b64 v[10:13], v1 offset0:2 offset1:3
	ds_load_2addr_b64 v[14:17], v1 offset0:90 offset1:91
	ds_load_2addr_b64 v[18:21], v1 offset0:92 offset1:93
	ds_load_2addr_b64 v[22:25], v1 offset0:4 offset1:5
	ds_load_2addr_b64 v[26:29], v1 offset0:6 offset1:7
	ds_load_2addr_b64 v[30:33], v1 offset0:94 offset1:95
	ds_load_2addr_b64 v[34:37], v1 offset0:96 offset1:97
	ds_load_2addr_b64 v[38:41], v1 offset0:8 offset1:9
	ds_load_2addr_b64 v[42:45], v1 offset0:10 offset1:98
	s_wait_dscnt 0x9
	v_add_nc_u64_e32 v[2:3], v[6:7], v[2:3]
	v_add_nc_u64_e32 v[4:5], v[8:9], v[4:5]
	s_wait_dscnt 0x7
	v_add_nc_u64_e32 v[6:7], v[10:11], v[14:15]
	v_add_nc_u64_e32 v[8:9], v[12:13], v[16:17]
	s_wait_dscnt 0x5
	v_add_nc_u64_e32 v[10:11], v[22:23], v[18:19]
	v_add_nc_u64_e32 v[12:13], v[24:25], v[20:21]
	s_wait_dscnt 0x3
	v_add_nc_u64_e32 v[14:15], v[26:27], v[30:31]
	v_add_nc_u64_e32 v[16:17], v[28:29], v[32:33]
	s_wait_dscnt 0x1
	v_add_nc_u64_e32 v[18:19], v[38:39], v[34:35]
	v_add_nc_u64_e32 v[20:21], v[40:41], v[36:37]
	s_wait_dscnt 0x0
	v_add_nc_u64_e32 v[22:23], v[42:43], v[44:45]
	ds_store_2addr_b64 v1, v[2:3], v[4:5] offset1:1
	ds_store_2addr_b64 v1, v[6:7], v[8:9] offset0:2 offset1:3
	ds_store_2addr_b64 v1, v[10:11], v[12:13] offset0:4 offset1:5
	ds_store_2addr_b64 v1, v[14:15], v[16:17] offset0:6 offset1:7
	ds_store_2addr_b64 v1, v[18:19], v[20:21] offset0:8 offset1:9
	ds_store_b64 v1, v[22:23] offset:80
.LBB49_12:
	;; [unrolled: 44-line block ×4, first 2 shown]
	s_or_b32 exec_lo, exec_lo, s2
	s_delay_alu instid0(SALU_CYCLE_1)
	s_mov_b32 s2, exec_lo
	s_wait_dscnt 0x0
	s_barrier_signal -1
	s_barrier_wait -1
	v_cmpx_eq_u32_e32 0, v0
	s_cbranch_execz .LBB49_18
; %bb.17:
	v_mov_b32_e32 v1, 0
	ds_load_b128 v[2:5], v1 offset:80
	ds_load_b128 v[6:9], v1
	ds_load_b128 v[10:13], v1 offset:96
	ds_load_b128 v[14:17], v1 offset:16
	ds_load_b128 v[18:21], v1 offset:112
	ds_load_b128 v[22:25], v1 offset:32
	ds_load_b128 v[26:29], v1 offset:128
	ds_load_b128 v[30:33], v1 offset:48
	ds_load_b128 v[34:37], v1 offset:144
	ds_load_b128 v[38:41], v1 offset:64
	ds_load_b128 v[42:45], v1 offset:160
	s_wait_dscnt 0x9
	v_add_nc_u64_e32 v[4:5], v[6:7], v[4:5]
	s_wait_dscnt 0x8
	v_add_nc_u64_e32 v[6:7], v[8:9], v[10:11]
	;; [unrolled: 2-line block ×10, first 2 shown]
	v_add_nc_u64_e32 v[2:3], v[2:3], v[44:45]
	ds_store_b128 v1, v[4:7]
	ds_store_b128 v1, v[8:11] offset:16
	ds_store_b128 v1, v[12:15] offset:32
	ds_store_b128 v1, v[16:19] offset:48
	ds_store_b128 v1, v[20:23] offset:64
	ds_store_b64 v1, v[2:3] offset:80
.LBB49_18:
	s_or_b32 exec_lo, exec_lo, s2
	s_wait_dscnt 0x0
	s_barrier_signal -1
	s_barrier_wait -1
	s_mov_b32 s2, exec_lo
	v_cmpx_gt_u32_e32 11, v0
	s_cbranch_execz .LBB49_20
; %bb.19:
	v_lshlrev_b32_e32 v1, 3, v0
	ds_load_b64 v[2:3], v1
	s_wait_dscnt 0x0
	global_store_b64 v0, v[2:3], s[0:1] scale_offset
.LBB49_20:
	s_endpgm
	.section	.rodata,"a",@progbits
	.p2align	6, 0x0
	.amdhsa_kernel _ZN9rocsparseL35csrgemm_symbolic_group_reduce_part3ILj256ELj11ElEEvPT1_
		.amdhsa_group_segment_fixed_size 22528
		.amdhsa_private_segment_fixed_size 0
		.amdhsa_kernarg_size 8
		.amdhsa_user_sgpr_count 2
		.amdhsa_user_sgpr_dispatch_ptr 0
		.amdhsa_user_sgpr_queue_ptr 0
		.amdhsa_user_sgpr_kernarg_segment_ptr 1
		.amdhsa_user_sgpr_dispatch_id 0
		.amdhsa_user_sgpr_kernarg_preload_length 0
		.amdhsa_user_sgpr_kernarg_preload_offset 0
		.amdhsa_user_sgpr_private_segment_size 0
		.amdhsa_wavefront_size32 1
		.amdhsa_uses_dynamic_stack 0
		.amdhsa_enable_private_segment 0
		.amdhsa_system_sgpr_workgroup_id_x 1
		.amdhsa_system_sgpr_workgroup_id_y 0
		.amdhsa_system_sgpr_workgroup_id_z 0
		.amdhsa_system_sgpr_workgroup_info 0
		.amdhsa_system_vgpr_workitem_id 0
		.amdhsa_next_free_vgpr 46
		.amdhsa_next_free_sgpr 5
		.amdhsa_named_barrier_count 0
		.amdhsa_reserve_vcc 1
		.amdhsa_float_round_mode_32 0
		.amdhsa_float_round_mode_16_64 0
		.amdhsa_float_denorm_mode_32 3
		.amdhsa_float_denorm_mode_16_64 3
		.amdhsa_fp16_overflow 0
		.amdhsa_memory_ordered 1
		.amdhsa_forward_progress 1
		.amdhsa_inst_pref_size 19
		.amdhsa_round_robin_scheduling 0
		.amdhsa_exception_fp_ieee_invalid_op 0
		.amdhsa_exception_fp_denorm_src 0
		.amdhsa_exception_fp_ieee_div_zero 0
		.amdhsa_exception_fp_ieee_overflow 0
		.amdhsa_exception_fp_ieee_underflow 0
		.amdhsa_exception_fp_ieee_inexact 0
		.amdhsa_exception_int_div_zero 0
	.end_amdhsa_kernel
	.section	.text._ZN9rocsparseL35csrgemm_symbolic_group_reduce_part3ILj256ELj11ElEEvPT1_,"axG",@progbits,_ZN9rocsparseL35csrgemm_symbolic_group_reduce_part3ILj256ELj11ElEEvPT1_,comdat
.Lfunc_end49:
	.size	_ZN9rocsparseL35csrgemm_symbolic_group_reduce_part3ILj256ELj11ElEEvPT1_, .Lfunc_end49-_ZN9rocsparseL35csrgemm_symbolic_group_reduce_part3ILj256ELj11ElEEvPT1_
                                        ; -- End function
	.set _ZN9rocsparseL35csrgemm_symbolic_group_reduce_part3ILj256ELj11ElEEvPT1_.num_vgpr, 46
	.set _ZN9rocsparseL35csrgemm_symbolic_group_reduce_part3ILj256ELj11ElEEvPT1_.num_agpr, 0
	.set _ZN9rocsparseL35csrgemm_symbolic_group_reduce_part3ILj256ELj11ElEEvPT1_.numbered_sgpr, 5
	.set _ZN9rocsparseL35csrgemm_symbolic_group_reduce_part3ILj256ELj11ElEEvPT1_.num_named_barrier, 0
	.set _ZN9rocsparseL35csrgemm_symbolic_group_reduce_part3ILj256ELj11ElEEvPT1_.private_seg_size, 0
	.set _ZN9rocsparseL35csrgemm_symbolic_group_reduce_part3ILj256ELj11ElEEvPT1_.uses_vcc, 1
	.set _ZN9rocsparseL35csrgemm_symbolic_group_reduce_part3ILj256ELj11ElEEvPT1_.uses_flat_scratch, 0
	.set _ZN9rocsparseL35csrgemm_symbolic_group_reduce_part3ILj256ELj11ElEEvPT1_.has_dyn_sized_stack, 0
	.set _ZN9rocsparseL35csrgemm_symbolic_group_reduce_part3ILj256ELj11ElEEvPT1_.has_recursion, 0
	.set _ZN9rocsparseL35csrgemm_symbolic_group_reduce_part3ILj256ELj11ElEEvPT1_.has_indirect_call, 0
	.section	.AMDGPU.csdata,"",@progbits
; Kernel info:
; codeLenInByte = 2372
; TotalNumSgprs: 7
; NumVgprs: 46
; ScratchSize: 0
; MemoryBound: 1
; FloatMode: 240
; IeeeMode: 1
; LDSByteSize: 22528 bytes/workgroup (compile time only)
; SGPRBlocks: 0
; VGPRBlocks: 2
; NumSGPRsForWavesPerEU: 7
; NumVGPRsForWavesPerEU: 46
; NamedBarCnt: 0
; Occupancy: 16
; WaveLimiterHint : 1
; COMPUTE_PGM_RSRC2:SCRATCH_EN: 0
; COMPUTE_PGM_RSRC2:USER_SGPR: 2
; COMPUTE_PGM_RSRC2:TRAP_HANDLER: 0
; COMPUTE_PGM_RSRC2:TGID_X_EN: 1
; COMPUTE_PGM_RSRC2:TGID_Y_EN: 0
; COMPUTE_PGM_RSRC2:TGID_Z_EN: 0
; COMPUTE_PGM_RSRC2:TIDIG_COMP_CNT: 0
	.section	.text._ZN9rocsparseL32csrgemm_symbolic_fill_wf_per_rowILj256ELj8ELj16ELj137EllEEvT4_S1_PKS1_S3_PKT3_S3_S6_S3_S6_S3_S6_PS1_21rocsparse_index_base_S8_S8_S8_bb,"axG",@progbits,_ZN9rocsparseL32csrgemm_symbolic_fill_wf_per_rowILj256ELj8ELj16ELj137EllEEvT4_S1_PKS1_S3_PKT3_S3_S6_S3_S6_S3_S6_PS1_21rocsparse_index_base_S8_S8_S8_bb,comdat
	.globl	_ZN9rocsparseL32csrgemm_symbolic_fill_wf_per_rowILj256ELj8ELj16ELj137EllEEvT4_S1_PKS1_S3_PKT3_S3_S6_S3_S6_S3_S6_PS1_21rocsparse_index_base_S8_S8_S8_bb ; -- Begin function _ZN9rocsparseL32csrgemm_symbolic_fill_wf_per_rowILj256ELj8ELj16ELj137EllEEvT4_S1_PKS1_S3_PKT3_S3_S6_S3_S6_S3_S6_PS1_21rocsparse_index_base_S8_S8_S8_bb
	.p2align	8
	.type	_ZN9rocsparseL32csrgemm_symbolic_fill_wf_per_rowILj256ELj8ELj16ELj137EllEEvT4_S1_PKS1_S3_PKT3_S3_S6_S3_S6_S3_S6_PS1_21rocsparse_index_base_S8_S8_S8_bb,@function
_ZN9rocsparseL32csrgemm_symbolic_fill_wf_per_rowILj256ELj8ELj16ELj137EllEEvT4_S1_PKS1_S3_PKT3_S3_S6_S3_S6_S3_S6_PS1_21rocsparse_index_base_S8_S8_S8_bb: ; @_ZN9rocsparseL32csrgemm_symbolic_fill_wf_per_rowILj256ELj8ELj16ELj137EllEEvT4_S1_PKS1_S3_PKT3_S3_S6_S3_S6_S3_S6_PS1_21rocsparse_index_base_S8_S8_S8_bb
; %bb.0:
	s_load_b256 s[4:11], s[0:1], 0x0
	v_dual_lshrrev_b32 v2, 3, v0 :: v_dual_bitop2_b32 v6, 7, v0 bitop3:0x40
	s_clause 0x1
	s_load_b256 s[12:19], s[0:1], 0x40
	s_load_b256 s[20:27], s[0:1], 0x20
	s_mov_b32 s2, 0
	v_lshlrev_b32_e32 v15, 7, v2
	v_or_b32_e32 v19, -8, v6
	s_delay_alu instid0(VALU_DEP_2) | instskip(NEXT) | instid1(VALU_DEP_1)
	v_lshl_or_b32 v18, v6, 3, v15
	v_dual_mov_b32 v4, v19 :: v_dual_mov_b32 v3, v18
	s_wait_kmcnt 0x0
	v_mov_b64_e32 v[0:1], s[6:7]
.LBB50_1:                               ; =>This Inner Loop Header: Depth=1
	s_delay_alu instid0(VALU_DEP_2) | instskip(SKIP_4) | instid1(SALU_CYCLE_1)
	v_add_co_u32 v4, s3, v4, 8
	s_xor_b32 s3, s3, -1
	ds_store_b64 v3, v[0:1]
	v_add_nc_u32_e32 v3, 64, v3
	s_and_b32 s3, exec_lo, s3
	s_or_b32 s2, s3, s2
	s_delay_alu instid0(SALU_CYCLE_1)
	s_and_not1_b32 exec_lo, exec_lo, s2
	s_cbranch_execnz .LBB50_1
; %bb.2:
	s_or_b32 exec_lo, exec_lo, s2
	s_bfe_u32 s2, ttmp6, 0x4000c
	s_and_b32 s3, ttmp6, 15
	s_add_co_i32 s2, s2, 1
	s_getreg_b32 s28, hwreg(HW_REG_IB_STS2, 6, 4)
	s_mul_i32 s2, ttmp9, s2
	v_mov_b32_e32 v5, 0
	s_add_co_i32 s3, s3, s2
	s_cmp_eq_u32 s28, 0
	s_wait_dscnt 0x0
	s_cselect_b32 s2, ttmp9, s3
	s_delay_alu instid0(SALU_CYCLE_1) | instskip(NEXT) | instid1(SALU_CYCLE_1)
	s_lshl_b32 s2, s2, 5
	v_and_or_b32 v4, 0x1fffffe0, s2, v2
	s_mov_b32 s2, exec_lo
	s_delay_alu instid0(VALU_DEP_1)
	v_cmpx_gt_i64_e64 s[4:5], v[4:5]
	s_cbranch_execz .LBB50_38
; %bb.3:
	s_cmp_eq_u64 s[10:11], 0
	s_cbranch_scc1 .LBB50_5
; %bb.4:
	s_load_b64 s[2:3], s[8:9], 0x0
	s_wait_kmcnt 0x0
	s_lshl_b64 s[2:3], s[2:3], 3
	s_delay_alu instid0(SALU_CYCLE_1)
	s_add_nc_u64 s[2:3], s[10:11], s[2:3]
	global_load_b64 v[4:5], v4, s[2:3] scale_offset
.LBB50_5:
	s_clause 0x1
	s_load_b32 s4, s[0:1], 0x70
	s_load_b128 s[8:11], s[0:1], 0x60
	s_wait_xcnt 0x0
	s_mov_b32 s1, 0
	s_wait_kmcnt 0x0
	s_bitcmp0_b32 s4, 0
	s_cbranch_scc1 .LBB50_21
; %bb.6:
	s_wait_loadcnt 0x0
	v_lshl_add_u64 v[0:1], v[4:5], 3, s[20:21]
	v_mov_b32_e32 v7, 0
	s_mov_b32 s0, s8
	s_mov_b32 s5, exec_lo
	global_load_b128 v[0:3], v[0:1], off
	v_sub_nc_u64_e64 v[10:11], v[6:7], s[0:1]
	s_wait_loadcnt 0x0
	v_sub_nc_u64_e64 v[8:9], v[2:3], s[0:1]
	s_delay_alu instid0(VALU_DEP_2) | instskip(NEXT) | instid1(VALU_DEP_1)
	v_add_nc_u64_e32 v[10:11], v[0:1], v[10:11]
	v_cmpx_lt_i64_e64 v[10:11], v[8:9]
	s_cbranch_execz .LBB50_20
; %bb.7:
	s_mov_b32 s3, 0
	s_mov_b32 s2, s9
	s_mov_b32 s8, s3
	s_branch .LBB50_9
.LBB50_8:                               ;   in Loop: Header=BB50_9 Depth=1
	s_or_b32 exec_lo, exec_lo, s9
	v_add_nc_u64_e32 v[10:11], 8, v[10:11]
	s_delay_alu instid0(VALU_DEP_1) | instskip(SKIP_1) | instid1(SALU_CYCLE_1)
	v_cmp_ge_i64_e32 vcc_lo, v[10:11], v[8:9]
	s_or_b32 s8, vcc_lo, s8
	s_and_not1_b32 exec_lo, exec_lo, s8
	s_cbranch_execz .LBB50_20
.LBB50_9:                               ; =>This Loop Header: Depth=1
                                        ;     Child Loop BB50_12 Depth 2
                                        ;       Child Loop BB50_15 Depth 3
	v_lshl_add_u64 v[0:1], v[10:11], 3, s[22:23]
	s_mov_b32 s9, exec_lo
	global_load_b64 v[0:1], v[0:1], off
	s_wait_loadcnt 0x0
	v_sub_nc_u64_e64 v[0:1], v[0:1], s[0:1]
	s_delay_alu instid0(VALU_DEP_1)
	v_lshl_add_u64 v[0:1], v[0:1], 3, s[24:25]
	global_load_b128 v[0:3], v[0:1], off
	s_wait_loadcnt 0x0
	v_cmpx_lt_i64_e64 v[0:1], v[2:3]
	s_cbranch_execz .LBB50_8
; %bb.10:                               ;   in Loop: Header=BB50_9 Depth=1
	v_sub_nc_u64_e64 v[2:3], v[2:3], s[2:3]
	v_sub_nc_u64_e64 v[0:1], v[0:1], s[2:3]
	s_mov_b32 s20, 0
	s_branch .LBB50_12
.LBB50_11:                              ;   in Loop: Header=BB50_12 Depth=2
	s_or_b32 exec_lo, exec_lo, s21
	v_add_nc_u64_e32 v[0:1], 1, v[0:1]
	s_delay_alu instid0(VALU_DEP_1) | instskip(SKIP_1) | instid1(SALU_CYCLE_1)
	v_cmp_ge_i64_e32 vcc_lo, v[0:1], v[2:3]
	s_or_b32 s20, vcc_lo, s20
	s_and_not1_b32 exec_lo, exec_lo, s20
	s_cbranch_execz .LBB50_8
.LBB50_12:                              ;   Parent Loop BB50_9 Depth=1
                                        ; =>  This Loop Header: Depth=2
                                        ;       Child Loop BB50_15 Depth 3
	s_delay_alu instid0(VALU_DEP_1) | instskip(SKIP_4) | instid1(VALU_DEP_1)
	v_lshl_add_u64 v[12:13], v[0:1], 3, s[26:27]
	s_mov_b32 s21, 0
                                        ; implicit-def: $sgpr28
	global_load_b64 v[12:13], v[12:13], off
	s_wait_loadcnt 0x0
	v_sub_nc_u64_e64 v[12:13], v[12:13], s[2:3]
	v_lshl_add_u32 v7, v12, 3, v12
	s_delay_alu instid0(VALU_DEP_1)
	v_and_b32_e32 v14, 15, v7
	s_branch .LBB50_15
.LBB50_13:                              ;   in Loop: Header=BB50_15 Depth=3
	s_or_b32 exec_lo, exec_lo, s30
	s_delay_alu instid0(SALU_CYCLE_1) | instskip(SKIP_1) | instid1(SALU_CYCLE_1)
	s_and_not1_b32 s28, s28, exec_lo
	s_and_b32 s30, s31, exec_lo
	s_or_b32 s28, s28, s30
.LBB50_14:                              ;   in Loop: Header=BB50_15 Depth=3
	s_or_b32 exec_lo, exec_lo, s29
	s_xor_b32 s29, s28, -1
	s_delay_alu instid0(SALU_CYCLE_1) | instskip(NEXT) | instid1(SALU_CYCLE_1)
	s_and_b32 s29, exec_lo, s29
	s_or_b32 s21, s29, s21
	s_delay_alu instid0(SALU_CYCLE_1)
	s_and_not1_b32 exec_lo, exec_lo, s21
	s_cbranch_execz .LBB50_11
.LBB50_15:                              ;   Parent Loop BB50_9 Depth=1
                                        ;     Parent Loop BB50_12 Depth=2
                                        ; =>    This Inner Loop Header: Depth=3
	s_delay_alu instid0(VALU_DEP_1)
	v_lshl_add_u32 v7, v14, 3, v15
	s_and_not1_b32 s28, s28, exec_lo
	s_mov_b32 s29, exec_lo
	ds_load_b64 v[16:17], v7
	s_wait_dscnt 0x0
	v_cmpx_ne_u64_e64 v[16:17], v[12:13]
	s_cbranch_execz .LBB50_14
; %bb.16:                               ;   in Loop: Header=BB50_15 Depth=3
	s_mov_b32 s30, exec_lo
	v_cmpx_ne_u64_e64 s[6:7], v[16:17]
	s_xor_b32 s30, exec_lo, s30
; %bb.17:                               ;   in Loop: Header=BB50_15 Depth=3
	v_add_nc_u32_e32 v7, 1, v14
	s_delay_alu instid0(VALU_DEP_1)
	v_and_b32_e32 v14, 15, v7
                                        ; implicit-def: $vgpr7
; %bb.18:                               ;   in Loop: Header=BB50_15 Depth=3
	s_or_saveexec_b32 s30, s30
	s_mov_b32 s31, -1
	s_xor_b32 exec_lo, exec_lo, s30
	s_cbranch_execz .LBB50_13
; %bb.19:                               ;   in Loop: Header=BB50_15 Depth=3
	v_mov_b64_e32 v[16:17], s[6:7]
	ds_cmpstore_rtn_b64 v[16:17], v7, v[12:13], v[16:17]
	s_wait_dscnt 0x0
	v_cmp_ne_u64_e32 vcc_lo, s[6:7], v[16:17]
	s_or_not1_b32 s31, vcc_lo, exec_lo
	s_branch .LBB50_13
.LBB50_20:
	s_or_b32 exec_lo, exec_lo, s5
.LBB50_21:
	s_bfe_u32 s0, s4, 0x10008
	s_delay_alu instid0(SALU_CYCLE_1)
	s_cmp_eq_u32 s0, 0
	s_cbranch_scc1 .LBB50_34
; %bb.22:
	s_wait_loadcnt 0x0
	v_lshl_add_u64 v[0:1], v[4:5], 3, s[12:13]
	v_mov_b32_e32 v7, 0
	s_mov_b32 s1, 0
	s_mov_b32 s0, s11
	s_mov_b32 s2, exec_lo
	global_load_b128 v[8:11], v[0:1], off
	v_sub_nc_u64_e64 v[2:3], v[6:7], s[0:1]
	s_wait_loadcnt 0x0
	v_sub_nc_u64_e64 v[0:1], v[10:11], s[0:1]
	s_delay_alu instid0(VALU_DEP_2) | instskip(NEXT) | instid1(VALU_DEP_1)
	v_add_nc_u64_e32 v[2:3], v[8:9], v[2:3]
	v_cmpx_lt_i64_e64 v[2:3], v[0:1]
	s_cbranch_execz .LBB50_33
; %bb.23:
	s_mov_b32 s3, s1
	s_branch .LBB50_25
.LBB50_24:                              ;   in Loop: Header=BB50_25 Depth=1
	s_or_b32 exec_lo, exec_lo, s4
	v_add_nc_u64_e32 v[2:3], 8, v[2:3]
	s_delay_alu instid0(VALU_DEP_1) | instskip(SKIP_1) | instid1(SALU_CYCLE_1)
	v_cmp_ge_i64_e32 vcc_lo, v[2:3], v[0:1]
	s_or_b32 s3, vcc_lo, s3
	s_and_not1_b32 exec_lo, exec_lo, s3
	s_cbranch_execz .LBB50_33
.LBB50_25:                              ; =>This Loop Header: Depth=1
                                        ;     Child Loop BB50_28 Depth 2
	v_lshl_add_u64 v[6:7], v[2:3], 3, s[14:15]
	s_mov_b32 s4, 0
                                        ; implicit-def: $sgpr5
	global_load_b64 v[6:7], v[6:7], off
	s_wait_loadcnt 0x0
	v_sub_nc_u64_e64 v[6:7], v[6:7], s[0:1]
	s_delay_alu instid0(VALU_DEP_1) | instskip(NEXT) | instid1(VALU_DEP_1)
	v_lshl_add_u32 v8, v6, 3, v6
	v_and_b32_e32 v8, 15, v8
	s_branch .LBB50_28
.LBB50_26:                              ;   in Loop: Header=BB50_28 Depth=2
	s_or_b32 exec_lo, exec_lo, s9
	s_delay_alu instid0(SALU_CYCLE_1) | instskip(SKIP_1) | instid1(SALU_CYCLE_1)
	s_and_not1_b32 s5, s5, exec_lo
	s_and_b32 s9, s11, exec_lo
	s_or_b32 s5, s5, s9
.LBB50_27:                              ;   in Loop: Header=BB50_28 Depth=2
	s_or_b32 exec_lo, exec_lo, s8
	s_xor_b32 s8, s5, -1
	s_delay_alu instid0(SALU_CYCLE_1) | instskip(NEXT) | instid1(SALU_CYCLE_1)
	s_and_b32 s8, exec_lo, s8
	s_or_b32 s4, s8, s4
	s_delay_alu instid0(SALU_CYCLE_1)
	s_and_not1_b32 exec_lo, exec_lo, s4
	s_cbranch_execz .LBB50_24
.LBB50_28:                              ;   Parent Loop BB50_25 Depth=1
                                        ; =>  This Inner Loop Header: Depth=2
	s_delay_alu instid0(VALU_DEP_1)
	v_lshl_add_u32 v9, v8, 3, v15
	s_and_not1_b32 s5, s5, exec_lo
	s_mov_b32 s8, exec_lo
	ds_load_b64 v[10:11], v9
	s_wait_dscnt 0x0
	v_cmpx_ne_u64_e64 v[10:11], v[6:7]
	s_cbranch_execz .LBB50_27
; %bb.29:                               ;   in Loop: Header=BB50_28 Depth=2
	s_mov_b32 s9, exec_lo
	v_cmpx_ne_u64_e64 s[6:7], v[10:11]
	s_xor_b32 s9, exec_lo, s9
; %bb.30:                               ;   in Loop: Header=BB50_28 Depth=2
	v_add_nc_u32_e32 v8, 1, v8
                                        ; implicit-def: $vgpr9
	s_delay_alu instid0(VALU_DEP_1)
	v_and_b32_e32 v8, 15, v8
; %bb.31:                               ;   in Loop: Header=BB50_28 Depth=2
	s_or_saveexec_b32 s9, s9
	s_mov_b32 s11, -1
	s_xor_b32 exec_lo, exec_lo, s9
	s_cbranch_execz .LBB50_26
; %bb.32:                               ;   in Loop: Header=BB50_28 Depth=2
	v_mov_b64_e32 v[10:11], s[6:7]
	ds_cmpstore_rtn_b64 v[10:11], v9, v[6:7], v[10:11]
	s_wait_dscnt 0x0
	v_cmp_ne_u64_e32 vcc_lo, s[6:7], v[10:11]
	s_or_not1_b32 s11, vcc_lo, exec_lo
	s_branch .LBB50_26
.LBB50_33:
	s_or_b32 exec_lo, exec_lo, s2
.LBB50_34:
	s_wait_loadcnt 0x0
	v_lshl_add_u64 v[0:1], v[4:5], 3, s[16:17]
	s_mov_b32 s11, 0
	v_mov_b32_e32 v3, 0
	s_mov_b32 s0, s11
	global_load_b64 v[0:1], v[0:1], off
	s_wait_loadcnt 0x0
	v_sub_nc_u64_e64 v[0:1], v[0:1], s[10:11]
	s_delay_alu instid0(VALU_DEP_1)
	v_lshl_add_u64 v[0:1], v[0:1], 3, s[18:19]
	s_branch .LBB50_36
.LBB50_35:                              ;   in Loop: Header=BB50_36 Depth=1
	s_wait_xcnt 0x0
	s_or_b32 exec_lo, exec_lo, s1
	v_add_co_u32 v19, s1, v19, 8
	s_xor_b32 s1, s1, -1
	v_add_nc_u32_e32 v18, 64, v18
	s_and_b32 s1, exec_lo, s1
	s_delay_alu instid0(SALU_CYCLE_1) | instskip(NEXT) | instid1(SALU_CYCLE_1)
	s_or_b32 s0, s1, s0
	s_and_not1_b32 exec_lo, exec_lo, s0
	s_cbranch_execz .LBB50_38
.LBB50_36:                              ; =>This Inner Loop Header: Depth=1
	ds_load_b64 v[4:5], v18
	s_mov_b32 s1, exec_lo
	s_wait_dscnt 0x0
	v_cmpx_gt_i64_e64 s[6:7], v[4:5]
	s_cbranch_execz .LBB50_35
; %bb.37:                               ;   in Loop: Header=BB50_36 Depth=1
	ds_load_b128 v[6:9], v15
	ds_load_b128 v[10:13], v15 offset:16
	ds_load_b128 v[20:23], v15 offset:32
	s_wait_dscnt 0x2
	v_cmp_gt_i64_e32 vcc_lo, v[4:5], v[6:7]
	v_cndmask_b32_e64 v2, 0, 1, vcc_lo
	v_cmp_gt_i64_e32 vcc_lo, v[4:5], v[8:9]
	s_delay_alu instid0(VALU_DEP_2) | instskip(SKIP_3) | instid1(VALU_DEP_3)
	v_lshlrev_b32_e32 v2, 3, v2
	v_cndmask_b32_e64 v8, 0, 1, vcc_lo
	s_wait_dscnt 0x1
	v_cmp_gt_i64_e32 vcc_lo, v[4:5], v[10:11]
	v_add_nc_u64_e32 v[6:7], v[0:1], v[2:3]
	s_delay_alu instid0(VALU_DEP_3) | instskip(SKIP_2) | instid1(VALU_DEP_3)
	v_lshlrev_b32_e32 v2, 3, v8
	v_cndmask_b32_e64 v14, 0, 1, vcc_lo
	v_cmp_gt_i64_e32 vcc_lo, v[4:5], v[12:13]
	v_add_nc_u64_e32 v[10:11], v[6:7], v[2:3]
	ds_load_b128 v[6:9], v15 offset:48
	v_lshlrev_b32_e32 v2, 3, v14
	v_cndmask_b32_e64 v12, 0, 1, vcc_lo
	s_wait_dscnt 0x1
	v_cmp_gt_i64_e32 vcc_lo, v[4:5], v[20:21]
	s_delay_alu instid0(VALU_DEP_3) | instskip(NEXT) | instid1(VALU_DEP_3)
	v_add_nc_u64_e32 v[10:11], v[10:11], v[2:3]
	v_lshlrev_b32_e32 v2, 3, v12
	v_cndmask_b32_e64 v14, 0, 1, vcc_lo
	v_cmp_gt_i64_e32 vcc_lo, v[4:5], v[22:23]
	s_delay_alu instid0(VALU_DEP_3)
	v_add_nc_u64_e32 v[16:17], v[10:11], v[2:3]
	ds_load_b128 v[10:13], v15 offset:64
	ds_load_b128 v[20:23], v15 offset:80
	v_lshlrev_b32_e32 v2, 3, v14
	v_cndmask_b32_e64 v14, 0, 1, vcc_lo
	s_wait_dscnt 0x2
	v_cmp_gt_i64_e32 vcc_lo, v[4:5], v[6:7]
	s_delay_alu instid0(VALU_DEP_3) | instskip(NEXT) | instid1(VALU_DEP_3)
	v_add_nc_u64_e32 v[16:17], v[16:17], v[2:3]
	v_lshlrev_b32_e32 v2, 3, v14
	v_cndmask_b32_e64 v14, 0, 1, vcc_lo
	v_cmp_gt_i64_e32 vcc_lo, v[4:5], v[8:9]
	s_delay_alu instid0(VALU_DEP_3) | instskip(NEXT) | instid1(VALU_DEP_3)
	v_add_nc_u64_e32 v[6:7], v[16:17], v[2:3]
	v_lshlrev_b32_e32 v2, 3, v14
	v_cndmask_b32_e64 v8, 0, 1, vcc_lo
	s_wait_dscnt 0x1
	v_cmp_gt_i64_e32 vcc_lo, v[4:5], v[10:11]
	s_delay_alu instid0(VALU_DEP_3) | instskip(NEXT) | instid1(VALU_DEP_3)
	v_add_nc_u64_e32 v[6:7], v[6:7], v[2:3]
	v_lshlrev_b32_e32 v2, 3, v8
	v_cndmask_b32_e64 v14, 0, 1, vcc_lo
	v_cmp_gt_i64_e32 vcc_lo, v[4:5], v[12:13]
	s_delay_alu instid0(VALU_DEP_3)
	v_add_nc_u64_e32 v[10:11], v[6:7], v[2:3]
	ds_load_b128 v[6:9], v15 offset:96
	v_lshlrev_b32_e32 v2, 3, v14
	v_cndmask_b32_e64 v12, 0, 1, vcc_lo
	s_wait_dscnt 0x1
	v_cmp_gt_i64_e32 vcc_lo, v[4:5], v[20:21]
	s_delay_alu instid0(VALU_DEP_3) | instskip(NEXT) | instid1(VALU_DEP_3)
	v_add_nc_u64_e32 v[10:11], v[10:11], v[2:3]
	v_lshlrev_b32_e32 v2, 3, v12
	v_cndmask_b32_e64 v14, 0, 1, vcc_lo
	v_cmp_gt_i64_e32 vcc_lo, v[4:5], v[22:23]
	s_delay_alu instid0(VALU_DEP_3)
	v_add_nc_u64_e32 v[16:17], v[10:11], v[2:3]
	ds_load_b128 v[10:13], v15 offset:112
	v_lshlrev_b32_e32 v2, 3, v14
	v_cndmask_b32_e64 v14, 0, 1, vcc_lo
	s_wait_dscnt 0x1
	v_cmp_gt_i64_e32 vcc_lo, v[4:5], v[6:7]
	s_delay_alu instid0(VALU_DEP_3) | instskip(NEXT) | instid1(VALU_DEP_3)
	v_add_nc_u64_e32 v[16:17], v[16:17], v[2:3]
	v_lshlrev_b32_e32 v2, 3, v14
	v_cndmask_b32_e64 v14, 0, 1, vcc_lo
	v_cmp_gt_i64_e32 vcc_lo, v[4:5], v[8:9]
	s_delay_alu instid0(VALU_DEP_3) | instskip(NEXT) | instid1(VALU_DEP_3)
	v_add_nc_u64_e32 v[6:7], v[16:17], v[2:3]
	v_lshlrev_b32_e32 v2, 3, v14
	v_cndmask_b32_e64 v8, 0, 1, vcc_lo
	s_wait_dscnt 0x0
	v_cmp_gt_i64_e32 vcc_lo, v[4:5], v[10:11]
	s_delay_alu instid0(VALU_DEP_3) | instskip(NEXT) | instid1(VALU_DEP_3)
	v_add_nc_u64_e32 v[6:7], v[6:7], v[2:3]
	v_lshlrev_b32_e32 v2, 3, v8
	v_cndmask_b32_e64 v8, 0, 1, vcc_lo
	v_cmp_gt_i64_e32 vcc_lo, v[4:5], v[12:13]
	s_delay_alu instid0(VALU_DEP_3) | instskip(SKIP_1) | instid1(VALU_DEP_4)
	v_add_nc_u64_e32 v[6:7], v[6:7], v[2:3]
	v_add_nc_u64_e32 v[4:5], s[10:11], v[4:5]
	v_lshlrev_b32_e32 v2, 3, v8
	v_cndmask_b32_e64 v8, 0, 1, vcc_lo
	s_delay_alu instid0(VALU_DEP_2) | instskip(NEXT) | instid1(VALU_DEP_2)
	v_add_nc_u64_e32 v[6:7], v[6:7], v[2:3]
	v_lshlrev_b32_e32 v2, 3, v8
	s_delay_alu instid0(VALU_DEP_1)
	v_add_nc_u64_e32 v[6:7], v[6:7], v[2:3]
	global_store_b64 v[6:7], v[4:5], off
	s_branch .LBB50_35
.LBB50_38:
	s_endpgm
	.section	.rodata,"a",@progbits
	.p2align	6, 0x0
	.amdhsa_kernel _ZN9rocsparseL32csrgemm_symbolic_fill_wf_per_rowILj256ELj8ELj16ELj137EllEEvT4_S1_PKS1_S3_PKT3_S3_S6_S3_S6_S3_S6_PS1_21rocsparse_index_base_S8_S8_S8_bb
		.amdhsa_group_segment_fixed_size 4096
		.amdhsa_private_segment_fixed_size 0
		.amdhsa_kernarg_size 116
		.amdhsa_user_sgpr_count 2
		.amdhsa_user_sgpr_dispatch_ptr 0
		.amdhsa_user_sgpr_queue_ptr 0
		.amdhsa_user_sgpr_kernarg_segment_ptr 1
		.amdhsa_user_sgpr_dispatch_id 0
		.amdhsa_user_sgpr_kernarg_preload_length 0
		.amdhsa_user_sgpr_kernarg_preload_offset 0
		.amdhsa_user_sgpr_private_segment_size 0
		.amdhsa_wavefront_size32 1
		.amdhsa_uses_dynamic_stack 0
		.amdhsa_enable_private_segment 0
		.amdhsa_system_sgpr_workgroup_id_x 1
		.amdhsa_system_sgpr_workgroup_id_y 0
		.amdhsa_system_sgpr_workgroup_id_z 0
		.amdhsa_system_sgpr_workgroup_info 0
		.amdhsa_system_vgpr_workitem_id 0
		.amdhsa_next_free_vgpr 24
		.amdhsa_next_free_sgpr 32
		.amdhsa_named_barrier_count 0
		.amdhsa_reserve_vcc 1
		.amdhsa_float_round_mode_32 0
		.amdhsa_float_round_mode_16_64 0
		.amdhsa_float_denorm_mode_32 3
		.amdhsa_float_denorm_mode_16_64 3
		.amdhsa_fp16_overflow 0
		.amdhsa_memory_ordered 1
		.amdhsa_forward_progress 1
		.amdhsa_inst_pref_size 14
		.amdhsa_round_robin_scheduling 0
		.amdhsa_exception_fp_ieee_invalid_op 0
		.amdhsa_exception_fp_denorm_src 0
		.amdhsa_exception_fp_ieee_div_zero 0
		.amdhsa_exception_fp_ieee_overflow 0
		.amdhsa_exception_fp_ieee_underflow 0
		.amdhsa_exception_fp_ieee_inexact 0
		.amdhsa_exception_int_div_zero 0
	.end_amdhsa_kernel
	.section	.text._ZN9rocsparseL32csrgemm_symbolic_fill_wf_per_rowILj256ELj8ELj16ELj137EllEEvT4_S1_PKS1_S3_PKT3_S3_S6_S3_S6_S3_S6_PS1_21rocsparse_index_base_S8_S8_S8_bb,"axG",@progbits,_ZN9rocsparseL32csrgemm_symbolic_fill_wf_per_rowILj256ELj8ELj16ELj137EllEEvT4_S1_PKS1_S3_PKT3_S3_S6_S3_S6_S3_S6_PS1_21rocsparse_index_base_S8_S8_S8_bb,comdat
.Lfunc_end50:
	.size	_ZN9rocsparseL32csrgemm_symbolic_fill_wf_per_rowILj256ELj8ELj16ELj137EllEEvT4_S1_PKS1_S3_PKT3_S3_S6_S3_S6_S3_S6_PS1_21rocsparse_index_base_S8_S8_S8_bb, .Lfunc_end50-_ZN9rocsparseL32csrgemm_symbolic_fill_wf_per_rowILj256ELj8ELj16ELj137EllEEvT4_S1_PKS1_S3_PKT3_S3_S6_S3_S6_S3_S6_PS1_21rocsparse_index_base_S8_S8_S8_bb
                                        ; -- End function
	.set _ZN9rocsparseL32csrgemm_symbolic_fill_wf_per_rowILj256ELj8ELj16ELj137EllEEvT4_S1_PKS1_S3_PKT3_S3_S6_S3_S6_S3_S6_PS1_21rocsparse_index_base_S8_S8_S8_bb.num_vgpr, 24
	.set _ZN9rocsparseL32csrgemm_symbolic_fill_wf_per_rowILj256ELj8ELj16ELj137EllEEvT4_S1_PKS1_S3_PKT3_S3_S6_S3_S6_S3_S6_PS1_21rocsparse_index_base_S8_S8_S8_bb.num_agpr, 0
	.set _ZN9rocsparseL32csrgemm_symbolic_fill_wf_per_rowILj256ELj8ELj16ELj137EllEEvT4_S1_PKS1_S3_PKT3_S3_S6_S3_S6_S3_S6_PS1_21rocsparse_index_base_S8_S8_S8_bb.numbered_sgpr, 32
	.set _ZN9rocsparseL32csrgemm_symbolic_fill_wf_per_rowILj256ELj8ELj16ELj137EllEEvT4_S1_PKS1_S3_PKT3_S3_S6_S3_S6_S3_S6_PS1_21rocsparse_index_base_S8_S8_S8_bb.num_named_barrier, 0
	.set _ZN9rocsparseL32csrgemm_symbolic_fill_wf_per_rowILj256ELj8ELj16ELj137EllEEvT4_S1_PKS1_S3_PKT3_S3_S6_S3_S6_S3_S6_PS1_21rocsparse_index_base_S8_S8_S8_bb.private_seg_size, 0
	.set _ZN9rocsparseL32csrgemm_symbolic_fill_wf_per_rowILj256ELj8ELj16ELj137EllEEvT4_S1_PKS1_S3_PKT3_S3_S6_S3_S6_S3_S6_PS1_21rocsparse_index_base_S8_S8_S8_bb.uses_vcc, 1
	.set _ZN9rocsparseL32csrgemm_symbolic_fill_wf_per_rowILj256ELj8ELj16ELj137EllEEvT4_S1_PKS1_S3_PKT3_S3_S6_S3_S6_S3_S6_PS1_21rocsparse_index_base_S8_S8_S8_bb.uses_flat_scratch, 0
	.set _ZN9rocsparseL32csrgemm_symbolic_fill_wf_per_rowILj256ELj8ELj16ELj137EllEEvT4_S1_PKS1_S3_PKT3_S3_S6_S3_S6_S3_S6_PS1_21rocsparse_index_base_S8_S8_S8_bb.has_dyn_sized_stack, 0
	.set _ZN9rocsparseL32csrgemm_symbolic_fill_wf_per_rowILj256ELj8ELj16ELj137EllEEvT4_S1_PKS1_S3_PKT3_S3_S6_S3_S6_S3_S6_PS1_21rocsparse_index_base_S8_S8_S8_bb.has_recursion, 0
	.set _ZN9rocsparseL32csrgemm_symbolic_fill_wf_per_rowILj256ELj8ELj16ELj137EllEEvT4_S1_PKS1_S3_PKT3_S3_S6_S3_S6_S3_S6_PS1_21rocsparse_index_base_S8_S8_S8_bb.has_indirect_call, 0
	.section	.AMDGPU.csdata,"",@progbits
; Kernel info:
; codeLenInByte = 1784
; TotalNumSgprs: 34
; NumVgprs: 24
; ScratchSize: 0
; MemoryBound: 0
; FloatMode: 240
; IeeeMode: 1
; LDSByteSize: 4096 bytes/workgroup (compile time only)
; SGPRBlocks: 0
; VGPRBlocks: 1
; NumSGPRsForWavesPerEU: 34
; NumVGPRsForWavesPerEU: 24
; NamedBarCnt: 0
; Occupancy: 16
; WaveLimiterHint : 1
; COMPUTE_PGM_RSRC2:SCRATCH_EN: 0
; COMPUTE_PGM_RSRC2:USER_SGPR: 2
; COMPUTE_PGM_RSRC2:TRAP_HANDLER: 0
; COMPUTE_PGM_RSRC2:TGID_X_EN: 1
; COMPUTE_PGM_RSRC2:TGID_Y_EN: 0
; COMPUTE_PGM_RSRC2:TGID_Z_EN: 0
; COMPUTE_PGM_RSRC2:TIDIG_COMP_CNT: 0
	.section	.text._ZN9rocsparseL32csrgemm_symbolic_fill_wf_per_rowILj256ELj16ELj32ELj137EllEEvT4_S1_PKS1_S3_PKT3_S3_S6_S3_S6_S3_S6_PS1_21rocsparse_index_base_S8_S8_S8_bb,"axG",@progbits,_ZN9rocsparseL32csrgemm_symbolic_fill_wf_per_rowILj256ELj16ELj32ELj137EllEEvT4_S1_PKS1_S3_PKT3_S3_S6_S3_S6_S3_S6_PS1_21rocsparse_index_base_S8_S8_S8_bb,comdat
	.globl	_ZN9rocsparseL32csrgemm_symbolic_fill_wf_per_rowILj256ELj16ELj32ELj137EllEEvT4_S1_PKS1_S3_PKT3_S3_S6_S3_S6_S3_S6_PS1_21rocsparse_index_base_S8_S8_S8_bb ; -- Begin function _ZN9rocsparseL32csrgemm_symbolic_fill_wf_per_rowILj256ELj16ELj32ELj137EllEEvT4_S1_PKS1_S3_PKT3_S3_S6_S3_S6_S3_S6_PS1_21rocsparse_index_base_S8_S8_S8_bb
	.p2align	8
	.type	_ZN9rocsparseL32csrgemm_symbolic_fill_wf_per_rowILj256ELj16ELj32ELj137EllEEvT4_S1_PKS1_S3_PKT3_S3_S6_S3_S6_S3_S6_PS1_21rocsparse_index_base_S8_S8_S8_bb,@function
_ZN9rocsparseL32csrgemm_symbolic_fill_wf_per_rowILj256ELj16ELj32ELj137EllEEvT4_S1_PKS1_S3_PKT3_S3_S6_S3_S6_S3_S6_PS1_21rocsparse_index_base_S8_S8_S8_bb: ; @_ZN9rocsparseL32csrgemm_symbolic_fill_wf_per_rowILj256ELj16ELj32ELj137EllEEvT4_S1_PKS1_S3_PKT3_S3_S6_S3_S6_S3_S6_PS1_21rocsparse_index_base_S8_S8_S8_bb
; %bb.0:
	s_load_b256 s[4:11], s[0:1], 0x0
	v_dual_lshrrev_b32 v2, 4, v0 :: v_dual_bitop2_b32 v6, 15, v0 bitop3:0x40
	s_clause 0x1
	s_load_b256 s[12:19], s[0:1], 0x40
	s_load_b256 s[20:27], s[0:1], 0x20
	s_mov_b32 s2, 0
	v_lshlrev_b32_e32 v15, 8, v2
	v_or_b32_e32 v19, -16, v6
	s_delay_alu instid0(VALU_DEP_2) | instskip(NEXT) | instid1(VALU_DEP_1)
	v_lshl_or_b32 v18, v6, 3, v15
	v_dual_mov_b32 v4, v19 :: v_dual_mov_b32 v3, v18
	s_wait_kmcnt 0x0
	v_mov_b64_e32 v[0:1], s[6:7]
.LBB51_1:                               ; =>This Inner Loop Header: Depth=1
	s_delay_alu instid0(VALU_DEP_2) | instskip(SKIP_4) | instid1(SALU_CYCLE_1)
	v_add_co_u32 v4, s3, v4, 16
	s_xor_b32 s3, s3, -1
	ds_store_b64 v3, v[0:1]
	v_add_nc_u32_e32 v3, 0x80, v3
	s_and_b32 s3, exec_lo, s3
	s_or_b32 s2, s3, s2
	s_delay_alu instid0(SALU_CYCLE_1)
	s_and_not1_b32 exec_lo, exec_lo, s2
	s_cbranch_execnz .LBB51_1
; %bb.2:
	s_or_b32 exec_lo, exec_lo, s2
	s_bfe_u32 s2, ttmp6, 0x4000c
	s_and_b32 s3, ttmp6, 15
	s_add_co_i32 s2, s2, 1
	s_getreg_b32 s28, hwreg(HW_REG_IB_STS2, 6, 4)
	s_mul_i32 s2, ttmp9, s2
	v_mov_b32_e32 v5, 0
	s_add_co_i32 s3, s3, s2
	s_cmp_eq_u32 s28, 0
	s_wait_dscnt 0x0
	s_cselect_b32 s2, ttmp9, s3
	s_delay_alu instid0(SALU_CYCLE_1) | instskip(NEXT) | instid1(SALU_CYCLE_1)
	s_lshl_b32 s2, s2, 4
	v_and_or_b32 v4, 0xffffff0, s2, v2
	s_mov_b32 s2, exec_lo
	s_delay_alu instid0(VALU_DEP_1)
	v_cmpx_gt_i64_e64 s[4:5], v[4:5]
	s_cbranch_execz .LBB51_38
; %bb.3:
	s_cmp_eq_u64 s[10:11], 0
	s_cbranch_scc1 .LBB51_5
; %bb.4:
	s_load_b64 s[2:3], s[8:9], 0x0
	s_wait_kmcnt 0x0
	s_lshl_b64 s[2:3], s[2:3], 3
	s_delay_alu instid0(SALU_CYCLE_1)
	s_add_nc_u64 s[2:3], s[10:11], s[2:3]
	global_load_b64 v[4:5], v4, s[2:3] scale_offset
.LBB51_5:
	s_clause 0x1
	s_load_b32 s4, s[0:1], 0x70
	s_load_b128 s[8:11], s[0:1], 0x60
	s_wait_xcnt 0x0
	s_mov_b32 s1, 0
	s_wait_kmcnt 0x0
	s_bitcmp0_b32 s4, 0
	s_cbranch_scc1 .LBB51_21
; %bb.6:
	s_wait_loadcnt 0x0
	v_lshl_add_u64 v[0:1], v[4:5], 3, s[20:21]
	v_mov_b32_e32 v7, 0
	s_mov_b32 s0, s8
	s_mov_b32 s5, exec_lo
	global_load_b128 v[0:3], v[0:1], off
	v_sub_nc_u64_e64 v[10:11], v[6:7], s[0:1]
	s_wait_loadcnt 0x0
	v_sub_nc_u64_e64 v[8:9], v[2:3], s[0:1]
	s_delay_alu instid0(VALU_DEP_2) | instskip(NEXT) | instid1(VALU_DEP_1)
	v_add_nc_u64_e32 v[10:11], v[0:1], v[10:11]
	v_cmpx_lt_i64_e64 v[10:11], v[8:9]
	s_cbranch_execz .LBB51_20
; %bb.7:
	s_mov_b32 s3, 0
	s_mov_b32 s2, s9
	;; [unrolled: 1-line block ×3, first 2 shown]
	s_branch .LBB51_9
.LBB51_8:                               ;   in Loop: Header=BB51_9 Depth=1
	s_or_b32 exec_lo, exec_lo, s9
	v_add_nc_u64_e32 v[10:11], 16, v[10:11]
	s_delay_alu instid0(VALU_DEP_1) | instskip(SKIP_1) | instid1(SALU_CYCLE_1)
	v_cmp_ge_i64_e32 vcc_lo, v[10:11], v[8:9]
	s_or_b32 s8, vcc_lo, s8
	s_and_not1_b32 exec_lo, exec_lo, s8
	s_cbranch_execz .LBB51_20
.LBB51_9:                               ; =>This Loop Header: Depth=1
                                        ;     Child Loop BB51_12 Depth 2
                                        ;       Child Loop BB51_15 Depth 3
	v_lshl_add_u64 v[0:1], v[10:11], 3, s[22:23]
	s_mov_b32 s9, exec_lo
	global_load_b64 v[0:1], v[0:1], off
	s_wait_loadcnt 0x0
	v_sub_nc_u64_e64 v[0:1], v[0:1], s[0:1]
	s_delay_alu instid0(VALU_DEP_1)
	v_lshl_add_u64 v[0:1], v[0:1], 3, s[24:25]
	global_load_b128 v[0:3], v[0:1], off
	s_wait_loadcnt 0x0
	v_cmpx_lt_i64_e64 v[0:1], v[2:3]
	s_cbranch_execz .LBB51_8
; %bb.10:                               ;   in Loop: Header=BB51_9 Depth=1
	v_sub_nc_u64_e64 v[2:3], v[2:3], s[2:3]
	v_sub_nc_u64_e64 v[0:1], v[0:1], s[2:3]
	s_mov_b32 s20, 0
	s_branch .LBB51_12
.LBB51_11:                              ;   in Loop: Header=BB51_12 Depth=2
	s_or_b32 exec_lo, exec_lo, s21
	v_add_nc_u64_e32 v[0:1], 1, v[0:1]
	s_delay_alu instid0(VALU_DEP_1) | instskip(SKIP_1) | instid1(SALU_CYCLE_1)
	v_cmp_ge_i64_e32 vcc_lo, v[0:1], v[2:3]
	s_or_b32 s20, vcc_lo, s20
	s_and_not1_b32 exec_lo, exec_lo, s20
	s_cbranch_execz .LBB51_8
.LBB51_12:                              ;   Parent Loop BB51_9 Depth=1
                                        ; =>  This Loop Header: Depth=2
                                        ;       Child Loop BB51_15 Depth 3
	s_delay_alu instid0(VALU_DEP_1) | instskip(SKIP_4) | instid1(VALU_DEP_1)
	v_lshl_add_u64 v[12:13], v[0:1], 3, s[26:27]
	s_mov_b32 s21, 0
                                        ; implicit-def: $sgpr28
	global_load_b64 v[12:13], v[12:13], off
	s_wait_loadcnt 0x0
	v_sub_nc_u64_e64 v[12:13], v[12:13], s[2:3]
	v_lshl_add_u32 v7, v12, 3, v12
	s_delay_alu instid0(VALU_DEP_1)
	v_and_b32_e32 v14, 31, v7
	s_branch .LBB51_15
.LBB51_13:                              ;   in Loop: Header=BB51_15 Depth=3
	s_or_b32 exec_lo, exec_lo, s30
	s_delay_alu instid0(SALU_CYCLE_1) | instskip(SKIP_1) | instid1(SALU_CYCLE_1)
	s_and_not1_b32 s28, s28, exec_lo
	s_and_b32 s30, s31, exec_lo
	s_or_b32 s28, s28, s30
.LBB51_14:                              ;   in Loop: Header=BB51_15 Depth=3
	s_or_b32 exec_lo, exec_lo, s29
	s_xor_b32 s29, s28, -1
	s_delay_alu instid0(SALU_CYCLE_1) | instskip(NEXT) | instid1(SALU_CYCLE_1)
	s_and_b32 s29, exec_lo, s29
	s_or_b32 s21, s29, s21
	s_delay_alu instid0(SALU_CYCLE_1)
	s_and_not1_b32 exec_lo, exec_lo, s21
	s_cbranch_execz .LBB51_11
.LBB51_15:                              ;   Parent Loop BB51_9 Depth=1
                                        ;     Parent Loop BB51_12 Depth=2
                                        ; =>    This Inner Loop Header: Depth=3
	s_delay_alu instid0(VALU_DEP_1)
	v_lshl_add_u32 v7, v14, 3, v15
	s_and_not1_b32 s28, s28, exec_lo
	s_mov_b32 s29, exec_lo
	ds_load_b64 v[16:17], v7
	s_wait_dscnt 0x0
	v_cmpx_ne_u64_e64 v[16:17], v[12:13]
	s_cbranch_execz .LBB51_14
; %bb.16:                               ;   in Loop: Header=BB51_15 Depth=3
	s_mov_b32 s30, exec_lo
	v_cmpx_ne_u64_e64 s[6:7], v[16:17]
	s_xor_b32 s30, exec_lo, s30
; %bb.17:                               ;   in Loop: Header=BB51_15 Depth=3
	v_add_nc_u32_e32 v7, 1, v14
	s_delay_alu instid0(VALU_DEP_1)
	v_and_b32_e32 v14, 31, v7
                                        ; implicit-def: $vgpr7
; %bb.18:                               ;   in Loop: Header=BB51_15 Depth=3
	s_or_saveexec_b32 s30, s30
	s_mov_b32 s31, -1
	s_xor_b32 exec_lo, exec_lo, s30
	s_cbranch_execz .LBB51_13
; %bb.19:                               ;   in Loop: Header=BB51_15 Depth=3
	v_mov_b64_e32 v[16:17], s[6:7]
	ds_cmpstore_rtn_b64 v[16:17], v7, v[12:13], v[16:17]
	s_wait_dscnt 0x0
	v_cmp_ne_u64_e32 vcc_lo, s[6:7], v[16:17]
	s_or_not1_b32 s31, vcc_lo, exec_lo
	s_branch .LBB51_13
.LBB51_20:
	s_or_b32 exec_lo, exec_lo, s5
.LBB51_21:
	s_bfe_u32 s0, s4, 0x10008
	s_delay_alu instid0(SALU_CYCLE_1)
	s_cmp_eq_u32 s0, 0
	s_cbranch_scc1 .LBB51_34
; %bb.22:
	s_wait_loadcnt 0x0
	v_lshl_add_u64 v[0:1], v[4:5], 3, s[12:13]
	v_mov_b32_e32 v7, 0
	s_mov_b32 s1, 0
	s_mov_b32 s0, s11
	s_mov_b32 s2, exec_lo
	global_load_b128 v[8:11], v[0:1], off
	v_sub_nc_u64_e64 v[2:3], v[6:7], s[0:1]
	s_wait_loadcnt 0x0
	v_sub_nc_u64_e64 v[0:1], v[10:11], s[0:1]
	s_delay_alu instid0(VALU_DEP_2) | instskip(NEXT) | instid1(VALU_DEP_1)
	v_add_nc_u64_e32 v[2:3], v[8:9], v[2:3]
	v_cmpx_lt_i64_e64 v[2:3], v[0:1]
	s_cbranch_execz .LBB51_33
; %bb.23:
	s_mov_b32 s3, s1
	s_branch .LBB51_25
.LBB51_24:                              ;   in Loop: Header=BB51_25 Depth=1
	s_or_b32 exec_lo, exec_lo, s4
	v_add_nc_u64_e32 v[2:3], 16, v[2:3]
	s_delay_alu instid0(VALU_DEP_1) | instskip(SKIP_1) | instid1(SALU_CYCLE_1)
	v_cmp_ge_i64_e32 vcc_lo, v[2:3], v[0:1]
	s_or_b32 s3, vcc_lo, s3
	s_and_not1_b32 exec_lo, exec_lo, s3
	s_cbranch_execz .LBB51_33
.LBB51_25:                              ; =>This Loop Header: Depth=1
                                        ;     Child Loop BB51_28 Depth 2
	v_lshl_add_u64 v[6:7], v[2:3], 3, s[14:15]
	s_mov_b32 s4, 0
                                        ; implicit-def: $sgpr5
	global_load_b64 v[6:7], v[6:7], off
	s_wait_loadcnt 0x0
	v_sub_nc_u64_e64 v[6:7], v[6:7], s[0:1]
	s_delay_alu instid0(VALU_DEP_1) | instskip(NEXT) | instid1(VALU_DEP_1)
	v_lshl_add_u32 v8, v6, 3, v6
	v_and_b32_e32 v8, 31, v8
	s_branch .LBB51_28
.LBB51_26:                              ;   in Loop: Header=BB51_28 Depth=2
	s_or_b32 exec_lo, exec_lo, s9
	s_delay_alu instid0(SALU_CYCLE_1) | instskip(SKIP_1) | instid1(SALU_CYCLE_1)
	s_and_not1_b32 s5, s5, exec_lo
	s_and_b32 s9, s11, exec_lo
	s_or_b32 s5, s5, s9
.LBB51_27:                              ;   in Loop: Header=BB51_28 Depth=2
	s_or_b32 exec_lo, exec_lo, s8
	s_xor_b32 s8, s5, -1
	s_delay_alu instid0(SALU_CYCLE_1) | instskip(NEXT) | instid1(SALU_CYCLE_1)
	s_and_b32 s8, exec_lo, s8
	s_or_b32 s4, s8, s4
	s_delay_alu instid0(SALU_CYCLE_1)
	s_and_not1_b32 exec_lo, exec_lo, s4
	s_cbranch_execz .LBB51_24
.LBB51_28:                              ;   Parent Loop BB51_25 Depth=1
                                        ; =>  This Inner Loop Header: Depth=2
	s_delay_alu instid0(VALU_DEP_1)
	v_lshl_add_u32 v9, v8, 3, v15
	s_and_not1_b32 s5, s5, exec_lo
	s_mov_b32 s8, exec_lo
	ds_load_b64 v[10:11], v9
	s_wait_dscnt 0x0
	v_cmpx_ne_u64_e64 v[10:11], v[6:7]
	s_cbranch_execz .LBB51_27
; %bb.29:                               ;   in Loop: Header=BB51_28 Depth=2
	s_mov_b32 s9, exec_lo
	v_cmpx_ne_u64_e64 s[6:7], v[10:11]
	s_xor_b32 s9, exec_lo, s9
; %bb.30:                               ;   in Loop: Header=BB51_28 Depth=2
	v_add_nc_u32_e32 v8, 1, v8
                                        ; implicit-def: $vgpr9
	s_delay_alu instid0(VALU_DEP_1)
	v_and_b32_e32 v8, 31, v8
; %bb.31:                               ;   in Loop: Header=BB51_28 Depth=2
	s_or_saveexec_b32 s9, s9
	s_mov_b32 s11, -1
	s_xor_b32 exec_lo, exec_lo, s9
	s_cbranch_execz .LBB51_26
; %bb.32:                               ;   in Loop: Header=BB51_28 Depth=2
	v_mov_b64_e32 v[10:11], s[6:7]
	ds_cmpstore_rtn_b64 v[10:11], v9, v[6:7], v[10:11]
	s_wait_dscnt 0x0
	v_cmp_ne_u64_e32 vcc_lo, s[6:7], v[10:11]
	s_or_not1_b32 s11, vcc_lo, exec_lo
	s_branch .LBB51_26
.LBB51_33:
	s_or_b32 exec_lo, exec_lo, s2
.LBB51_34:
	s_wait_loadcnt 0x0
	v_lshl_add_u64 v[0:1], v[4:5], 3, s[16:17]
	s_mov_b32 s11, 0
	v_mov_b32_e32 v3, 0
	s_mov_b32 s0, s11
	global_load_b64 v[0:1], v[0:1], off
	s_wait_loadcnt 0x0
	v_sub_nc_u64_e64 v[0:1], v[0:1], s[10:11]
	s_delay_alu instid0(VALU_DEP_1)
	v_lshl_add_u64 v[0:1], v[0:1], 3, s[18:19]
	s_branch .LBB51_36
.LBB51_35:                              ;   in Loop: Header=BB51_36 Depth=1
	s_wait_xcnt 0x0
	s_or_b32 exec_lo, exec_lo, s1
	v_add_co_u32 v19, s1, v19, 16
	s_xor_b32 s1, s1, -1
	v_add_nc_u32_e32 v18, 0x80, v18
	s_and_b32 s1, exec_lo, s1
	s_delay_alu instid0(SALU_CYCLE_1) | instskip(NEXT) | instid1(SALU_CYCLE_1)
	s_or_b32 s0, s1, s0
	s_and_not1_b32 exec_lo, exec_lo, s0
	s_cbranch_execz .LBB51_38
.LBB51_36:                              ; =>This Inner Loop Header: Depth=1
	ds_load_b64 v[4:5], v18
	s_mov_b32 s1, exec_lo
	s_wait_dscnt 0x0
	v_cmpx_gt_i64_e64 s[6:7], v[4:5]
	s_cbranch_execz .LBB51_35
; %bb.37:                               ;   in Loop: Header=BB51_36 Depth=1
	ds_load_b128 v[6:9], v15
	ds_load_b128 v[10:13], v15 offset:16
	ds_load_b128 v[20:23], v15 offset:32
	s_wait_dscnt 0x2
	v_cmp_gt_i64_e32 vcc_lo, v[4:5], v[6:7]
	v_cndmask_b32_e64 v2, 0, 1, vcc_lo
	v_cmp_gt_i64_e32 vcc_lo, v[4:5], v[8:9]
	s_delay_alu instid0(VALU_DEP_2) | instskip(SKIP_3) | instid1(VALU_DEP_3)
	v_lshlrev_b32_e32 v2, 3, v2
	v_cndmask_b32_e64 v8, 0, 1, vcc_lo
	s_wait_dscnt 0x1
	v_cmp_gt_i64_e32 vcc_lo, v[4:5], v[10:11]
	v_add_nc_u64_e32 v[6:7], v[0:1], v[2:3]
	s_delay_alu instid0(VALU_DEP_3) | instskip(SKIP_2) | instid1(VALU_DEP_3)
	v_lshlrev_b32_e32 v2, 3, v8
	v_cndmask_b32_e64 v14, 0, 1, vcc_lo
	v_cmp_gt_i64_e32 vcc_lo, v[4:5], v[12:13]
	v_add_nc_u64_e32 v[10:11], v[6:7], v[2:3]
	ds_load_b128 v[6:9], v15 offset:48
	v_lshlrev_b32_e32 v2, 3, v14
	v_cndmask_b32_e64 v12, 0, 1, vcc_lo
	s_wait_dscnt 0x1
	v_cmp_gt_i64_e32 vcc_lo, v[4:5], v[20:21]
	s_delay_alu instid0(VALU_DEP_3) | instskip(NEXT) | instid1(VALU_DEP_3)
	v_add_nc_u64_e32 v[10:11], v[10:11], v[2:3]
	v_lshlrev_b32_e32 v2, 3, v12
	v_cndmask_b32_e64 v14, 0, 1, vcc_lo
	v_cmp_gt_i64_e32 vcc_lo, v[4:5], v[22:23]
	s_delay_alu instid0(VALU_DEP_3)
	v_add_nc_u64_e32 v[16:17], v[10:11], v[2:3]
	ds_load_b128 v[10:13], v15 offset:64
	ds_load_b128 v[20:23], v15 offset:80
	v_lshlrev_b32_e32 v2, 3, v14
	v_cndmask_b32_e64 v14, 0, 1, vcc_lo
	s_wait_dscnt 0x2
	v_cmp_gt_i64_e32 vcc_lo, v[4:5], v[6:7]
	s_delay_alu instid0(VALU_DEP_3) | instskip(NEXT) | instid1(VALU_DEP_3)
	v_add_nc_u64_e32 v[16:17], v[16:17], v[2:3]
	v_lshlrev_b32_e32 v2, 3, v14
	v_cndmask_b32_e64 v14, 0, 1, vcc_lo
	v_cmp_gt_i64_e32 vcc_lo, v[4:5], v[8:9]
	s_delay_alu instid0(VALU_DEP_3) | instskip(NEXT) | instid1(VALU_DEP_3)
	v_add_nc_u64_e32 v[6:7], v[16:17], v[2:3]
	v_lshlrev_b32_e32 v2, 3, v14
	v_cndmask_b32_e64 v8, 0, 1, vcc_lo
	s_wait_dscnt 0x1
	v_cmp_gt_i64_e32 vcc_lo, v[4:5], v[10:11]
	s_delay_alu instid0(VALU_DEP_3) | instskip(NEXT) | instid1(VALU_DEP_3)
	v_add_nc_u64_e32 v[6:7], v[6:7], v[2:3]
	v_lshlrev_b32_e32 v2, 3, v8
	v_cndmask_b32_e64 v14, 0, 1, vcc_lo
	v_cmp_gt_i64_e32 vcc_lo, v[4:5], v[12:13]
	s_delay_alu instid0(VALU_DEP_3)
	v_add_nc_u64_e32 v[10:11], v[6:7], v[2:3]
	ds_load_b128 v[6:9], v15 offset:96
	v_lshlrev_b32_e32 v2, 3, v14
	v_cndmask_b32_e64 v12, 0, 1, vcc_lo
	s_wait_dscnt 0x1
	v_cmp_gt_i64_e32 vcc_lo, v[4:5], v[20:21]
	s_delay_alu instid0(VALU_DEP_3) | instskip(NEXT) | instid1(VALU_DEP_3)
	v_add_nc_u64_e32 v[10:11], v[10:11], v[2:3]
	v_lshlrev_b32_e32 v2, 3, v12
	v_cndmask_b32_e64 v14, 0, 1, vcc_lo
	v_cmp_gt_i64_e32 vcc_lo, v[4:5], v[22:23]
	s_delay_alu instid0(VALU_DEP_3)
	v_add_nc_u64_e32 v[16:17], v[10:11], v[2:3]
	ds_load_b128 v[10:13], v15 offset:112
	ds_load_b128 v[20:23], v15 offset:128
	v_lshlrev_b32_e32 v2, 3, v14
	v_cndmask_b32_e64 v14, 0, 1, vcc_lo
	s_wait_dscnt 0x2
	v_cmp_gt_i64_e32 vcc_lo, v[4:5], v[6:7]
	s_delay_alu instid0(VALU_DEP_3) | instskip(NEXT) | instid1(VALU_DEP_3)
	v_add_nc_u64_e32 v[16:17], v[16:17], v[2:3]
	v_lshlrev_b32_e32 v2, 3, v14
	v_cndmask_b32_e64 v14, 0, 1, vcc_lo
	v_cmp_gt_i64_e32 vcc_lo, v[4:5], v[8:9]
	s_delay_alu instid0(VALU_DEP_3) | instskip(NEXT) | instid1(VALU_DEP_3)
	v_add_nc_u64_e32 v[6:7], v[16:17], v[2:3]
	v_lshlrev_b32_e32 v2, 3, v14
	v_cndmask_b32_e64 v8, 0, 1, vcc_lo
	s_wait_dscnt 0x1
	v_cmp_gt_i64_e32 vcc_lo, v[4:5], v[10:11]
	s_delay_alu instid0(VALU_DEP_3) | instskip(NEXT) | instid1(VALU_DEP_3)
	v_add_nc_u64_e32 v[6:7], v[6:7], v[2:3]
	v_lshlrev_b32_e32 v2, 3, v8
	v_cndmask_b32_e64 v14, 0, 1, vcc_lo
	v_cmp_gt_i64_e32 vcc_lo, v[4:5], v[12:13]
	s_delay_alu instid0(VALU_DEP_3)
	;; [unrolled: 36-line block ×4, first 2 shown]
	v_add_nc_u64_e32 v[10:11], v[6:7], v[2:3]
	ds_load_b128 v[6:9], v15 offset:240
	v_lshlrev_b32_e32 v2, 3, v14
	v_cndmask_b32_e64 v12, 0, 1, vcc_lo
	s_wait_dscnt 0x1
	v_cmp_gt_i64_e32 vcc_lo, v[4:5], v[20:21]
	s_delay_alu instid0(VALU_DEP_3) | instskip(NEXT) | instid1(VALU_DEP_3)
	v_add_nc_u64_e32 v[10:11], v[10:11], v[2:3]
	v_lshlrev_b32_e32 v2, 3, v12
	v_cndmask_b32_e64 v12, 0, 1, vcc_lo
	v_cmp_gt_i64_e32 vcc_lo, v[4:5], v[22:23]
	s_delay_alu instid0(VALU_DEP_3) | instskip(NEXT) | instid1(VALU_DEP_3)
	v_add_nc_u64_e32 v[10:11], v[10:11], v[2:3]
	v_lshlrev_b32_e32 v2, 3, v12
	v_cndmask_b32_e64 v12, 0, 1, vcc_lo
	s_wait_dscnt 0x0
	v_cmp_gt_i64_e32 vcc_lo, v[4:5], v[6:7]
	s_delay_alu instid0(VALU_DEP_3) | instskip(NEXT) | instid1(VALU_DEP_3)
	v_add_nc_u64_e32 v[10:11], v[10:11], v[2:3]
	v_lshlrev_b32_e32 v2, 3, v12
	v_cndmask_b32_e64 v12, 0, 1, vcc_lo
	v_cmp_gt_i64_e32 vcc_lo, v[4:5], v[8:9]
	s_delay_alu instid0(VALU_DEP_3) | instskip(SKIP_1) | instid1(VALU_DEP_4)
	v_add_nc_u64_e32 v[6:7], v[10:11], v[2:3]
	v_add_nc_u64_e32 v[4:5], s[10:11], v[4:5]
	v_lshlrev_b32_e32 v2, 3, v12
	v_cndmask_b32_e64 v8, 0, 1, vcc_lo
	s_delay_alu instid0(VALU_DEP_2) | instskip(NEXT) | instid1(VALU_DEP_2)
	v_add_nc_u64_e32 v[6:7], v[6:7], v[2:3]
	v_lshlrev_b32_e32 v2, 3, v8
	s_delay_alu instid0(VALU_DEP_1)
	v_add_nc_u64_e32 v[6:7], v[6:7], v[2:3]
	global_store_b64 v[6:7], v[4:5], off
	s_branch .LBB51_35
.LBB51_38:
	s_endpgm
	.section	.rodata,"a",@progbits
	.p2align	6, 0x0
	.amdhsa_kernel _ZN9rocsparseL32csrgemm_symbolic_fill_wf_per_rowILj256ELj16ELj32ELj137EllEEvT4_S1_PKS1_S3_PKT3_S3_S6_S3_S6_S3_S6_PS1_21rocsparse_index_base_S8_S8_S8_bb
		.amdhsa_group_segment_fixed_size 4096
		.amdhsa_private_segment_fixed_size 0
		.amdhsa_kernarg_size 116
		.amdhsa_user_sgpr_count 2
		.amdhsa_user_sgpr_dispatch_ptr 0
		.amdhsa_user_sgpr_queue_ptr 0
		.amdhsa_user_sgpr_kernarg_segment_ptr 1
		.amdhsa_user_sgpr_dispatch_id 0
		.amdhsa_user_sgpr_kernarg_preload_length 0
		.amdhsa_user_sgpr_kernarg_preload_offset 0
		.amdhsa_user_sgpr_private_segment_size 0
		.amdhsa_wavefront_size32 1
		.amdhsa_uses_dynamic_stack 0
		.amdhsa_enable_private_segment 0
		.amdhsa_system_sgpr_workgroup_id_x 1
		.amdhsa_system_sgpr_workgroup_id_y 0
		.amdhsa_system_sgpr_workgroup_id_z 0
		.amdhsa_system_sgpr_workgroup_info 0
		.amdhsa_system_vgpr_workitem_id 0
		.amdhsa_next_free_vgpr 24
		.amdhsa_next_free_sgpr 32
		.amdhsa_named_barrier_count 0
		.amdhsa_reserve_vcc 1
		.amdhsa_float_round_mode_32 0
		.amdhsa_float_round_mode_16_64 0
		.amdhsa_float_denorm_mode_32 3
		.amdhsa_float_denorm_mode_16_64 3
		.amdhsa_fp16_overflow 0
		.amdhsa_memory_ordered 1
		.amdhsa_forward_progress 1
		.amdhsa_inst_pref_size 18
		.amdhsa_round_robin_scheduling 0
		.amdhsa_exception_fp_ieee_invalid_op 0
		.amdhsa_exception_fp_denorm_src 0
		.amdhsa_exception_fp_ieee_div_zero 0
		.amdhsa_exception_fp_ieee_overflow 0
		.amdhsa_exception_fp_ieee_underflow 0
		.amdhsa_exception_fp_ieee_inexact 0
		.amdhsa_exception_int_div_zero 0
	.end_amdhsa_kernel
	.section	.text._ZN9rocsparseL32csrgemm_symbolic_fill_wf_per_rowILj256ELj16ELj32ELj137EllEEvT4_S1_PKS1_S3_PKT3_S3_S6_S3_S6_S3_S6_PS1_21rocsparse_index_base_S8_S8_S8_bb,"axG",@progbits,_ZN9rocsparseL32csrgemm_symbolic_fill_wf_per_rowILj256ELj16ELj32ELj137EllEEvT4_S1_PKS1_S3_PKT3_S3_S6_S3_S6_S3_S6_PS1_21rocsparse_index_base_S8_S8_S8_bb,comdat
.Lfunc_end51:
	.size	_ZN9rocsparseL32csrgemm_symbolic_fill_wf_per_rowILj256ELj16ELj32ELj137EllEEvT4_S1_PKS1_S3_PKT3_S3_S6_S3_S6_S3_S6_PS1_21rocsparse_index_base_S8_S8_S8_bb, .Lfunc_end51-_ZN9rocsparseL32csrgemm_symbolic_fill_wf_per_rowILj256ELj16ELj32ELj137EllEEvT4_S1_PKS1_S3_PKT3_S3_S6_S3_S6_S3_S6_PS1_21rocsparse_index_base_S8_S8_S8_bb
                                        ; -- End function
	.set _ZN9rocsparseL32csrgemm_symbolic_fill_wf_per_rowILj256ELj16ELj32ELj137EllEEvT4_S1_PKS1_S3_PKT3_S3_S6_S3_S6_S3_S6_PS1_21rocsparse_index_base_S8_S8_S8_bb.num_vgpr, 24
	.set _ZN9rocsparseL32csrgemm_symbolic_fill_wf_per_rowILj256ELj16ELj32ELj137EllEEvT4_S1_PKS1_S3_PKT3_S3_S6_S3_S6_S3_S6_PS1_21rocsparse_index_base_S8_S8_S8_bb.num_agpr, 0
	.set _ZN9rocsparseL32csrgemm_symbolic_fill_wf_per_rowILj256ELj16ELj32ELj137EllEEvT4_S1_PKS1_S3_PKT3_S3_S6_S3_S6_S3_S6_PS1_21rocsparse_index_base_S8_S8_S8_bb.numbered_sgpr, 32
	.set _ZN9rocsparseL32csrgemm_symbolic_fill_wf_per_rowILj256ELj16ELj32ELj137EllEEvT4_S1_PKS1_S3_PKT3_S3_S6_S3_S6_S3_S6_PS1_21rocsparse_index_base_S8_S8_S8_bb.num_named_barrier, 0
	.set _ZN9rocsparseL32csrgemm_symbolic_fill_wf_per_rowILj256ELj16ELj32ELj137EllEEvT4_S1_PKS1_S3_PKT3_S3_S6_S3_S6_S3_S6_PS1_21rocsparse_index_base_S8_S8_S8_bb.private_seg_size, 0
	.set _ZN9rocsparseL32csrgemm_symbolic_fill_wf_per_rowILj256ELj16ELj32ELj137EllEEvT4_S1_PKS1_S3_PKT3_S3_S6_S3_S6_S3_S6_PS1_21rocsparse_index_base_S8_S8_S8_bb.uses_vcc, 1
	.set _ZN9rocsparseL32csrgemm_symbolic_fill_wf_per_rowILj256ELj16ELj32ELj137EllEEvT4_S1_PKS1_S3_PKT3_S3_S6_S3_S6_S3_S6_PS1_21rocsparse_index_base_S8_S8_S8_bb.uses_flat_scratch, 0
	.set _ZN9rocsparseL32csrgemm_symbolic_fill_wf_per_rowILj256ELj16ELj32ELj137EllEEvT4_S1_PKS1_S3_PKT3_S3_S6_S3_S6_S3_S6_PS1_21rocsparse_index_base_S8_S8_S8_bb.has_dyn_sized_stack, 0
	.set _ZN9rocsparseL32csrgemm_symbolic_fill_wf_per_rowILj256ELj16ELj32ELj137EllEEvT4_S1_PKS1_S3_PKT3_S3_S6_S3_S6_S3_S6_PS1_21rocsparse_index_base_S8_S8_S8_bb.has_recursion, 0
	.set _ZN9rocsparseL32csrgemm_symbolic_fill_wf_per_rowILj256ELj16ELj32ELj137EllEEvT4_S1_PKS1_S3_PKT3_S3_S6_S3_S6_S3_S6_PS1_21rocsparse_index_base_S8_S8_S8_bb.has_indirect_call, 0
	.section	.AMDGPU.csdata,"",@progbits
; Kernel info:
; codeLenInByte = 2272
; TotalNumSgprs: 34
; NumVgprs: 24
; ScratchSize: 0
; MemoryBound: 0
; FloatMode: 240
; IeeeMode: 1
; LDSByteSize: 4096 bytes/workgroup (compile time only)
; SGPRBlocks: 0
; VGPRBlocks: 1
; NumSGPRsForWavesPerEU: 34
; NumVGPRsForWavesPerEU: 24
; NamedBarCnt: 0
; Occupancy: 16
; WaveLimiterHint : 1
; COMPUTE_PGM_RSRC2:SCRATCH_EN: 0
; COMPUTE_PGM_RSRC2:USER_SGPR: 2
; COMPUTE_PGM_RSRC2:TRAP_HANDLER: 0
; COMPUTE_PGM_RSRC2:TGID_X_EN: 1
; COMPUTE_PGM_RSRC2:TGID_Y_EN: 0
; COMPUTE_PGM_RSRC2:TGID_Z_EN: 0
; COMPUTE_PGM_RSRC2:TIDIG_COMP_CNT: 0
	.section	.text._ZN9rocsparseL35csrgemm_symbolic_fill_block_per_rowILj128ELj16ELj256ELj137ELj32EllEEvT5_PKS1_S3_PKT4_S3_S6_S3_S6_S3_S6_PS1_21rocsparse_index_base_S8_S8_S8_bb,"axG",@progbits,_ZN9rocsparseL35csrgemm_symbolic_fill_block_per_rowILj128ELj16ELj256ELj137ELj32EllEEvT5_PKS1_S3_PKT4_S3_S6_S3_S6_S3_S6_PS1_21rocsparse_index_base_S8_S8_S8_bb,comdat
	.globl	_ZN9rocsparseL35csrgemm_symbolic_fill_block_per_rowILj128ELj16ELj256ELj137ELj32EllEEvT5_PKS1_S3_PKT4_S3_S6_S3_S6_S3_S6_PS1_21rocsparse_index_base_S8_S8_S8_bb ; -- Begin function _ZN9rocsparseL35csrgemm_symbolic_fill_block_per_rowILj128ELj16ELj256ELj137ELj32EllEEvT5_PKS1_S3_PKT4_S3_S6_S3_S6_S3_S6_PS1_21rocsparse_index_base_S8_S8_S8_bb
	.p2align	8
	.type	_ZN9rocsparseL35csrgemm_symbolic_fill_block_per_rowILj128ELj16ELj256ELj137ELj32EllEEvT5_PKS1_S3_PKT4_S3_S6_S3_S6_S3_S6_PS1_21rocsparse_index_base_S8_S8_S8_bb,@function
_ZN9rocsparseL35csrgemm_symbolic_fill_block_per_rowILj128ELj16ELj256ELj137ELj32EllEEvT5_PKS1_S3_PKT4_S3_S6_S3_S6_S3_S6_PS1_21rocsparse_index_base_S8_S8_S8_bb: ; @_ZN9rocsparseL35csrgemm_symbolic_fill_block_per_rowILj128ELj16ELj256ELj137ELj32EllEEvT5_PKS1_S3_PKT4_S3_S6_S3_S6_S3_S6_PS1_21rocsparse_index_base_S8_S8_S8_bb
; %bb.0:
	s_load_b128 s[24:27], s[0:1], 0x0
	v_cmp_gt_u32_e64 s2, 0x100, v0
	v_or_b32_e32 v13, 0xffffff80, v0
	v_lshl_add_u32 v16, v0, 3, 0
	s_and_saveexec_b32 s3, s2
	s_cbranch_execz .LBB52_3
; %bb.1:
	s_wait_kmcnt 0x0
	v_mov_b64_e32 v[2:3], s[24:25]
	v_or_b32_e32 v1, 0xffffff80, v0
	v_lshl_add_u32 v4, v0, 3, 0
	s_mov_b32 s4, 0
.LBB52_2:                               ; =>This Inner Loop Header: Depth=1
	s_delay_alu instid0(VALU_DEP_2) | instskip(SKIP_4) | instid1(SALU_CYCLE_1)
	v_add_co_u32 v1, s5, 0x80, v1
	s_xor_b32 s5, s5, -1
	ds_store_b64 v4, v[2:3]
	v_add_nc_u32_e32 v4, 0x400, v4
	s_and_b32 s5, exec_lo, s5
	s_or_b32 s4, s5, s4
	s_delay_alu instid0(SALU_CYCLE_1)
	s_and_not1_b32 exec_lo, exec_lo, s4
	s_cbranch_execnz .LBB52_2
.LBB52_3:
	s_or_b32 exec_lo, exec_lo, s3
	s_clause 0x3
	s_load_b64 s[28:29], s[0:1], 0x50
	s_load_b256 s[4:11], s[0:1], 0x30
	s_load_b256 s[12:19], s[0:1], 0x10
	s_load_b32 s3, s[0:1], 0x68
	s_wait_dscnt 0x0
	s_barrier_signal -1
	s_barrier_wait -1
	s_wait_kmcnt 0x0
	s_load_b64 s[20:21], s[26:27], 0x0
	s_wait_xcnt 0x0
	s_getreg_b32 s26, hwreg(HW_REG_IB_STS2, 6, 4)
	s_bitcmp1_b32 s3, 0
	s_cselect_b32 s30, -1, 0
	s_bfe_u32 s22, ttmp6, 0x4000c
	s_and_b32 s23, ttmp6, 15
	s_add_co_i32 s22, s22, 1
	s_wait_kmcnt 0x0
	s_lshl_b64 s[20:21], s[20:21], 3
	s_mul_i32 s22, ttmp9, s22
	s_delay_alu instid0(SALU_CYCLE_1)
	s_add_co_i32 s23, s23, s22
	s_cmp_eq_u32 s26, 0
	s_add_nc_u64 s[26:27], s[12:13], s[20:21]
	s_cselect_b32 s31, ttmp9, s23
	s_load_b128 s[20:23], s[0:1], 0x58
	s_load_b64 s[12:13], s[26:27], s31 offset:0x0 scale_offset
	s_and_b32 vcc_lo, exec_lo, s30
	s_wait_xcnt 0x0
	s_mov_b32 s1, 0
	s_cbranch_vccz .LBB52_19
; %bb.4:
	s_wait_kmcnt 0x0
	s_lshl_b64 s[26:27], s[12:13], 3
	v_dual_mov_b32 v5, 0 :: v_dual_lshrrev_b32 v4, 4, v0
	s_add_nc_u64 s[14:15], s[14:15], s[26:27]
	s_mov_b32 s0, s20
	s_load_b128 s[36:39], s[14:15], 0x0
	s_mov_b32 s20, exec_lo
	v_sub_nc_u64_e64 v[2:3], v[4:5], s[0:1]
	s_wait_kmcnt 0x0
	s_delay_alu instid0(VALU_DEP_1)
	v_add_nc_u64_e32 v[2:3], s[36:37], v[2:3]
	s_sub_nc_u64 s[14:15], s[38:39], s[0:1]
	s_delay_alu instid0(VALU_DEP_1) | instid1(SALU_CYCLE_1)
	v_cmpx_gt_i64_e64 s[14:15], v[2:3]
	s_cbranch_execz .LBB52_18
; %bb.5:
	v_and_b32_e32 v4, 15, v0
	s_mov_b32 s27, 0
	s_mov_b32 s26, s21
	;; [unrolled: 1-line block ×3, first 2 shown]
	s_delay_alu instid0(VALU_DEP_1)
	v_sub_nc_u64_e64 v[4:5], v[4:5], s[26:27]
	s_branch .LBB52_7
.LBB52_6:                               ;   in Loop: Header=BB52_7 Depth=1
	s_or_b32 exec_lo, exec_lo, s30
	v_add_nc_u64_e32 v[2:3], 8, v[2:3]
	s_delay_alu instid0(VALU_DEP_1) | instskip(SKIP_1) | instid1(SALU_CYCLE_1)
	v_cmp_le_i64_e32 vcc_lo, s[14:15], v[2:3]
	s_or_b32 s21, vcc_lo, s21
	s_and_not1_b32 exec_lo, exec_lo, s21
	s_cbranch_execz .LBB52_18
.LBB52_7:                               ; =>This Loop Header: Depth=1
                                        ;     Child Loop BB52_10 Depth 2
                                        ;       Child Loop BB52_13 Depth 3
	v_lshl_add_u64 v[6:7], v[2:3], 3, s[16:17]
	s_mov_b32 s30, exec_lo
	global_load_b64 v[6:7], v[6:7], off
	s_wait_loadcnt 0x0
	v_sub_nc_u64_e64 v[6:7], v[6:7], s[0:1]
	s_delay_alu instid0(VALU_DEP_1) | instskip(SKIP_4) | instid1(VALU_DEP_1)
	v_lshl_add_u64 v[6:7], v[6:7], 3, s[18:19]
	global_load_b128 v[8:11], v[6:7], off
	s_wait_loadcnt 0x0
	v_sub_nc_u64_e64 v[6:7], v[10:11], s[26:27]
	v_add_nc_u64_e32 v[8:9], v[8:9], v[4:5]
	v_cmpx_lt_i64_e64 v[8:9], v[6:7]
	s_cbranch_execz .LBB52_6
; %bb.8:                                ;   in Loop: Header=BB52_7 Depth=1
	s_mov_b32 s31, 0
	s_branch .LBB52_10
.LBB52_9:                               ;   in Loop: Header=BB52_10 Depth=2
	s_or_b32 exec_lo, exec_lo, s33
	v_add_nc_u64_e32 v[8:9], 16, v[8:9]
	s_delay_alu instid0(VALU_DEP_1) | instskip(SKIP_1) | instid1(SALU_CYCLE_1)
	v_cmp_ge_i64_e32 vcc_lo, v[8:9], v[6:7]
	s_or_b32 s31, vcc_lo, s31
	s_and_not1_b32 exec_lo, exec_lo, s31
	s_cbranch_execz .LBB52_6
.LBB52_10:                              ;   Parent Loop BB52_7 Depth=1
                                        ; =>  This Loop Header: Depth=2
                                        ;       Child Loop BB52_13 Depth 3
	v_lshl_add_u64 v[10:11], v[8:9], 3, s[4:5]
	s_mov_b32 s33, 0
                                        ; implicit-def: $sgpr34
	global_load_b64 v[10:11], v[10:11], off
	s_wait_loadcnt 0x0
	v_sub_nc_u64_e64 v[10:11], v[10:11], s[26:27]
	s_delay_alu instid0(VALU_DEP_1) | instskip(NEXT) | instid1(VALU_DEP_1)
	v_mul_lo_u32 v1, 0x89, v10
	v_and_b32_e32 v12, 0xff, v1
	s_branch .LBB52_13
.LBB52_11:                              ;   in Loop: Header=BB52_13 Depth=3
	s_or_b32 exec_lo, exec_lo, s36
	s_delay_alu instid0(SALU_CYCLE_1) | instskip(SKIP_1) | instid1(SALU_CYCLE_1)
	s_and_not1_b32 s34, s34, exec_lo
	s_and_b32 s36, s37, exec_lo
	s_or_b32 s34, s34, s36
.LBB52_12:                              ;   in Loop: Header=BB52_13 Depth=3
	s_or_b32 exec_lo, exec_lo, s35
	s_xor_b32 s35, s34, -1
	s_delay_alu instid0(SALU_CYCLE_1) | instskip(NEXT) | instid1(SALU_CYCLE_1)
	s_and_b32 s35, exec_lo, s35
	s_or_b32 s33, s35, s33
	s_delay_alu instid0(SALU_CYCLE_1)
	s_and_not1_b32 exec_lo, exec_lo, s33
	s_cbranch_execz .LBB52_9
.LBB52_13:                              ;   Parent Loop BB52_7 Depth=1
                                        ;     Parent Loop BB52_10 Depth=2
                                        ; =>    This Inner Loop Header: Depth=3
	s_delay_alu instid0(VALU_DEP_1)
	v_lshl_add_u32 v1, v12, 3, 0
	s_and_not1_b32 s34, s34, exec_lo
	s_mov_b32 s35, exec_lo
	ds_load_b64 v[14:15], v1
	s_wait_dscnt 0x0
	v_cmpx_ne_u64_e64 v[14:15], v[10:11]
	s_cbranch_execz .LBB52_12
; %bb.14:                               ;   in Loop: Header=BB52_13 Depth=3
	s_mov_b32 s36, exec_lo
	v_cmpx_ne_u64_e64 s[24:25], v[14:15]
	s_xor_b32 s36, exec_lo, s36
; %bb.15:                               ;   in Loop: Header=BB52_13 Depth=3
	v_add_nc_u32_e32 v1, 1, v12
	s_delay_alu instid0(VALU_DEP_1)
	v_and_b32_e32 v12, 0xff, v1
                                        ; implicit-def: $vgpr1
; %bb.16:                               ;   in Loop: Header=BB52_13 Depth=3
	s_or_saveexec_b32 s36, s36
	s_mov_b32 s37, -1
	s_xor_b32 exec_lo, exec_lo, s36
	s_cbranch_execz .LBB52_11
; %bb.17:                               ;   in Loop: Header=BB52_13 Depth=3
	v_mov_b64_e32 v[14:15], s[24:25]
	ds_cmpstore_rtn_b64 v[14:15], v1, v[10:11], v[14:15]
	s_wait_dscnt 0x0
	v_cmp_ne_u64_e32 vcc_lo, s[24:25], v[14:15]
	s_or_not1_b32 s37, vcc_lo, exec_lo
	s_branch .LBB52_11
.LBB52_18:
	s_or_b32 exec_lo, exec_lo, s20
.LBB52_19:
	s_bfe_u32 s0, s3, 0x10008
	s_delay_alu instid0(SALU_CYCLE_1)
	s_cmp_eq_u32 s0, 0
	s_cbranch_scc1 .LBB52_32
; %bb.20:
	s_wait_kmcnt 0x0
	s_lshl_b64 s[0:1], s[12:13], 3
	v_mov_b32_e32 v1, 0
	s_add_nc_u64 s[0:1], s[6:7], s[0:1]
	s_mov_b32 s3, exec_lo
	s_load_b128 s[4:7], s[0:1], 0x0
	s_wait_xcnt 0x0
	s_mov_b32 s1, 0
	s_mov_b32 s0, s23
	s_delay_alu instid0(SALU_CYCLE_1) | instskip(SKIP_1) | instid1(VALU_DEP_1)
	v_sub_nc_u64_e64 v[2:3], v[0:1], s[0:1]
	s_wait_kmcnt 0x0
	v_add_nc_u64_e32 v[2:3], s[4:5], v[2:3]
	s_sub_nc_u64 s[4:5], s[6:7], s[0:1]
	s_delay_alu instid0(VALU_DEP_1) | instid1(SALU_CYCLE_1)
	v_cmpx_gt_i64_e64 s[4:5], v[2:3]
	s_cbranch_execz .LBB52_31
; %bb.21:
	s_mov_b32 s6, s1
	s_branch .LBB52_23
.LBB52_22:                              ;   in Loop: Header=BB52_23 Depth=1
	s_or_b32 exec_lo, exec_lo, s7
	v_add_nc_u64_e32 v[2:3], 0x80, v[2:3]
	s_delay_alu instid0(VALU_DEP_1) | instskip(SKIP_1) | instid1(SALU_CYCLE_1)
	v_cmp_le_i64_e32 vcc_lo, s[4:5], v[2:3]
	s_or_b32 s6, vcc_lo, s6
	s_and_not1_b32 exec_lo, exec_lo, s6
	s_cbranch_execz .LBB52_31
.LBB52_23:                              ; =>This Loop Header: Depth=1
                                        ;     Child Loop BB52_26 Depth 2
	v_lshl_add_u64 v[4:5], v[2:3], 3, s[8:9]
	s_mov_b32 s7, 0
                                        ; implicit-def: $sgpr14
	global_load_b64 v[4:5], v[4:5], off
	s_wait_loadcnt 0x0
	v_sub_nc_u64_e64 v[4:5], v[4:5], s[0:1]
	s_delay_alu instid0(VALU_DEP_1) | instskip(NEXT) | instid1(VALU_DEP_1)
	v_mul_lo_u32 v1, 0x89, v4
	v_and_b32_e32 v6, 0xff, v1
	s_branch .LBB52_26
.LBB52_24:                              ;   in Loop: Header=BB52_26 Depth=2
	s_or_b32 exec_lo, exec_lo, s16
	s_delay_alu instid0(SALU_CYCLE_1) | instskip(SKIP_1) | instid1(SALU_CYCLE_1)
	s_and_not1_b32 s14, s14, exec_lo
	s_and_b32 s16, s17, exec_lo
	s_or_b32 s14, s14, s16
.LBB52_25:                              ;   in Loop: Header=BB52_26 Depth=2
	s_or_b32 exec_lo, exec_lo, s15
	s_xor_b32 s15, s14, -1
	s_delay_alu instid0(SALU_CYCLE_1) | instskip(NEXT) | instid1(SALU_CYCLE_1)
	s_and_b32 s15, exec_lo, s15
	s_or_b32 s7, s15, s7
	s_delay_alu instid0(SALU_CYCLE_1)
	s_and_not1_b32 exec_lo, exec_lo, s7
	s_cbranch_execz .LBB52_22
.LBB52_26:                              ;   Parent Loop BB52_23 Depth=1
                                        ; =>  This Inner Loop Header: Depth=2
	s_delay_alu instid0(VALU_DEP_1)
	v_lshl_add_u32 v1, v6, 3, 0
	s_and_not1_b32 s14, s14, exec_lo
	s_mov_b32 s15, exec_lo
	ds_load_b64 v[8:9], v1
	s_wait_dscnt 0x0
	v_cmpx_ne_u64_e64 v[8:9], v[4:5]
	s_cbranch_execz .LBB52_25
; %bb.27:                               ;   in Loop: Header=BB52_26 Depth=2
	s_mov_b32 s16, exec_lo
	v_cmpx_ne_u64_e64 s[24:25], v[8:9]
	s_xor_b32 s16, exec_lo, s16
; %bb.28:                               ;   in Loop: Header=BB52_26 Depth=2
	v_add_nc_u32_e32 v1, 1, v6
	s_delay_alu instid0(VALU_DEP_1)
	v_and_b32_e32 v6, 0xff, v1
                                        ; implicit-def: $vgpr1
; %bb.29:                               ;   in Loop: Header=BB52_26 Depth=2
	s_or_saveexec_b32 s16, s16
	s_mov_b32 s17, -1
	s_xor_b32 exec_lo, exec_lo, s16
	s_cbranch_execz .LBB52_24
; %bb.30:                               ;   in Loop: Header=BB52_26 Depth=2
	v_mov_b64_e32 v[8:9], s[24:25]
	ds_cmpstore_rtn_b64 v[8:9], v1, v[4:5], v[8:9]
	s_wait_dscnt 0x0
	v_cmp_ne_u64_e32 vcc_lo, s[24:25], v[8:9]
	s_or_not1_b32 s17, vcc_lo, exec_lo
	s_branch .LBB52_24
.LBB52_31:
	s_or_b32 exec_lo, exec_lo, s3
.LBB52_32:
	s_barrier_signal -1
	s_barrier_wait -1
	s_and_saveexec_b32 s4, s2
	s_cbranch_execz .LBB52_45
; %bb.33:
	v_mbcnt_lo_u32_b32 v1, -1, 0
	v_dual_mov_b32 v3, 0 :: v_dual_lshrrev_b32 v2, 2, v0
	v_mov_b64_e32 v[4:5], 0
	v_cmp_lt_u32_e64 s0, 31, v0
	s_delay_alu instid0(VALU_DEP_4) | instskip(NEXT) | instid1(VALU_DEP_4)
	v_xor_b32_e32 v1, 31, v1
	v_and_b32_e32 v2, 24, v2
	v_cmp_lt_u32_e64 s1, 63, v0
	v_cmp_lt_u32_e64 s2, 0x5f, v0
	s_mov_b32 s5, 0
	v_lshrrev_b32_e64 v6, v1, -1
	v_add_nc_u32_e32 v1, 0, v2
	v_cmp_eq_u32_e32 vcc_lo, 0x7f, v0
	s_branch .LBB52_35
.LBB52_34:                              ;   in Loop: Header=BB52_35 Depth=1
	s_or_b32 exec_lo, exec_lo, s3
	s_wait_dscnt 0x0
	s_barrier_signal -1
	s_barrier_wait -1
	ds_load_b64 v[8:9], v3 offset:2072
	v_add_co_u32 v13, s3, 0x80, v13
	s_xor_b32 s3, s3, -1
	v_add_nc_u32_e32 v16, 0x400, v16
	s_and_b32 s3, exec_lo, s3
	s_delay_alu instid0(SALU_CYCLE_1)
	s_or_b32 s5, s3, s5
	s_wait_dscnt 0x0
	v_add_nc_u64_e32 v[4:5], v[8:9], v[4:5]
	s_and_not1_b32 exec_lo, exec_lo, s5
	s_cbranch_execz .LBB52_45
.LBB52_35:                              ; =>This Inner Loop Header: Depth=1
	ds_load_b64 v[8:9], v16
	s_wait_dscnt 0x0
	s_barrier_signal -1
	s_barrier_wait -1
	v_cmp_gt_i64_e64 s3, s[24:25], v[8:9]
	s_bcnt1_i32_b32 s6, s3
	s_delay_alu instid0(SALU_CYCLE_1) | instskip(NEXT) | instid1(VALU_DEP_1)
	v_dual_mov_b32 v2, s6 :: v_dual_bitop2_b32 v7, s3, v6 bitop3:0x40
	v_bcnt_u32_b32 v10, v7, 0
	ds_store_b64 v1, v[2:3] offset:2048
	s_wait_dscnt 0x0
	s_barrier_signal -1
	s_barrier_wait -1
	s_and_saveexec_b32 s6, s0
	s_cbranch_execnz .LBB52_40
; %bb.36:                               ;   in Loop: Header=BB52_35 Depth=1
	s_or_b32 exec_lo, exec_lo, s6
	s_and_saveexec_b32 s6, s1
	s_cbranch_execnz .LBB52_41
.LBB52_37:                              ;   in Loop: Header=BB52_35 Depth=1
	s_or_b32 exec_lo, exec_lo, s6
	s_and_saveexec_b32 s6, s2
	s_cbranch_execnz .LBB52_42
.LBB52_38:                              ;   in Loop: Header=BB52_35 Depth=1
	s_or_b32 exec_lo, exec_lo, s6
	v_ashrrev_i32_e32 v11, 31, v10
	s_and_saveexec_b32 s6, s3
	s_cbranch_execnz .LBB52_43
.LBB52_39:                              ;   in Loop: Header=BB52_35 Depth=1
	s_or_b32 exec_lo, exec_lo, s6
	s_and_saveexec_b32 s3, vcc_lo
	s_cbranch_execz .LBB52_34
	s_branch .LBB52_44
.LBB52_40:                              ;   in Loop: Header=BB52_35 Depth=1
	ds_load_b32 v2, v3 offset:2048
	s_wait_dscnt 0x0
	v_add_nc_u32_e32 v10, v2, v10
	s_or_b32 exec_lo, exec_lo, s6
	s_and_saveexec_b32 s6, s1
	s_cbranch_execz .LBB52_37
.LBB52_41:                              ;   in Loop: Header=BB52_35 Depth=1
	ds_load_b32 v2, v3 offset:2056
	s_wait_dscnt 0x0
	v_add_nc_u32_e32 v10, v10, v2
	s_or_b32 exec_lo, exec_lo, s6
	s_and_saveexec_b32 s6, s2
	s_cbranch_execz .LBB52_38
.LBB52_42:                              ;   in Loop: Header=BB52_35 Depth=1
	ds_load_b32 v2, v3 offset:2064
	s_wait_dscnt 0x0
	v_add_nc_u32_e32 v10, v10, v2
	s_or_b32 exec_lo, exec_lo, s6
	s_delay_alu instid0(VALU_DEP_1)
	v_ashrrev_i32_e32 v11, 31, v10
	s_and_saveexec_b32 s6, s3
	s_cbranch_execz .LBB52_39
.LBB52_43:                              ;   in Loop: Header=BB52_35 Depth=1
	v_dual_lshlrev_b32 v2, 3, v4 :: v_dual_lshlrev_b32 v7, 3, v10
	s_delay_alu instid0(VALU_DEP_1) | instskip(NEXT) | instid1(VALU_DEP_1)
	v_add_nc_u32_e32 v2, 0, v2
	v_add3_u32 v2, v2, v7, -8
	ds_store_b64 v2, v[8:9]
	s_or_b32 exec_lo, exec_lo, s6
	s_and_saveexec_b32 s3, vcc_lo
	s_cbranch_execz .LBB52_34
.LBB52_44:                              ;   in Loop: Header=BB52_35 Depth=1
	ds_store_b64 v3, v[10:11] offset:2072
	s_branch .LBB52_34
.LBB52_45:
	s_or_b32 exec_lo, exec_lo, s4
	s_wait_kmcnt 0x0
	s_lshl_b64 s[0:1], s[12:13], 3
	v_mov_b32_e32 v1, 0
	s_add_nc_u64 s[4:5], s[10:11], s[0:1]
	s_mov_b32 s6, exec_lo
	s_load_b128 s[0:3], s[4:5], 0x0
	s_wait_kmcnt 0x0
	s_sub_nc_u64 s[4:5], s[2:3], s[0:1]
	s_delay_alu instid0(SALU_CYCLE_1)
	v_cmpx_gt_i64_e64 s[4:5], v[0:1]
	s_cbranch_execz .LBB52_55
; %bb.46:
	s_sub_nc_u64 s[8:9], s[0:1], s[2:3]
	s_and_b64 s[6:7], s[4:5], 7
	v_cmp_lt_u64_e64 s10, s[8:9], -7
	s_and_b64 s[2:3], s[4:5], -8
	s_mov_b32 s23, 0
	s_cmp_lg_u64 s[6:7], 0
	s_sub_nc_u64 s[0:1], s[0:1], s[22:23]
	s_cselect_b32 s11, -1, 0
	s_mov_b32 s12, s23
	s_branch .LBB52_48
.LBB52_47:                              ;   in Loop: Header=BB52_48 Depth=1
	v_add_nc_u64_e32 v[0:1], 0x80, v[0:1]
	s_wait_dscnt 0x0
	v_add_nc_u64_e32 v[2:3], s[22:23], v[2:3]
	s_delay_alu instid0(VALU_DEP_3) | instskip(NEXT) | instid1(VALU_DEP_3)
	v_lshl_add_u64 v[4:5], v[4:5], 3, s[28:29]
	v_cmp_le_i64_e32 vcc_lo, s[4:5], v[0:1]
	global_store_b64 v[4:5], v[2:3], off
	s_or_b32 s12, vcc_lo, s12
	s_wait_xcnt 0x0
	s_and_not1_b32 exec_lo, exec_lo, s12
	s_cbranch_execz .LBB52_55
.LBB52_48:                              ; =>This Loop Header: Depth=1
                                        ;     Child Loop BB52_50 Depth 2
                                        ;     Child Loop BB52_54 Depth 2
	v_lshl_add_u32 v2, v0, 3, 0
	v_mov_b64_e32 v[4:5], s[0:1]
	s_and_not1_b32 vcc_lo, exec_lo, s10
	s_mov_b64 s[8:9], 0
	ds_load_b64 v[2:3], v2
	s_cbranch_vccnz .LBB52_52
; %bb.49:                               ;   in Loop: Header=BB52_48 Depth=1
	v_mov_b64_e32 v[4:5], s[0:1]
	s_mov_b32 s13, 0
.LBB52_50:                              ;   Parent Loop BB52_48 Depth=1
                                        ; =>  This Inner Loop Header: Depth=2
	s_delay_alu instid0(SALU_CYCLE_1)
	v_dual_mov_b32 v18, s13 :: v_dual_mov_b32 v15, s23
	v_mov_b32_e32 v17, s23
	s_add_nc_u64 s[8:9], s[8:9], 8
	s_add_co_i32 s13, s13, 64
	ds_load_2addr_b64 v[6:9], v18 offset1:1
	ds_load_2addr_b64 v[10:13], v18 offset0:2 offset1:3
	s_cmp_eq_u64 s[2:3], s[8:9]
	s_wait_dscnt 0x1
	v_cmp_gt_i64_e32 vcc_lo, v[2:3], v[6:7]
	v_cndmask_b32_e64 v14, 0, 1, vcc_lo
	v_cmp_gt_i64_e32 vcc_lo, v[2:3], v[8:9]
	s_delay_alu instid0(VALU_DEP_2) | instskip(SKIP_4) | instid1(VALU_DEP_2)
	v_add_nc_u64_e32 v[8:9], v[4:5], v[14:15]
	ds_load_2addr_b64 v[4:7], v18 offset0:4 offset1:5
	v_cndmask_b32_e64 v16, 0, 1, vcc_lo
	s_wait_dscnt 0x1
	v_cmp_gt_i64_e32 vcc_lo, v[2:3], v[10:11]
	v_add_nc_u64_e32 v[8:9], v[8:9], v[16:17]
	v_cndmask_b32_e64 v14, 0, 1, vcc_lo
	v_cmp_gt_i64_e32 vcc_lo, v[2:3], v[12:13]
	s_delay_alu instid0(VALU_DEP_2)
	v_add_nc_u64_e32 v[12:13], v[8:9], v[14:15]
	ds_load_2addr_b64 v[8:11], v18 offset0:6 offset1:7
	v_cndmask_b32_e64 v16, 0, 1, vcc_lo
	s_wait_dscnt 0x1
	v_cmp_gt_i64_e32 vcc_lo, v[2:3], v[4:5]
	v_mov_b32_e32 v5, s23
	s_delay_alu instid0(VALU_DEP_3) | instskip(SKIP_3) | instid1(VALU_DEP_3)
	v_add_nc_u64_e32 v[12:13], v[12:13], v[16:17]
	v_cndmask_b32_e64 v14, 0, 1, vcc_lo
	v_cmp_gt_i64_e32 vcc_lo, v[2:3], v[6:7]
	v_mov_b32_e32 v7, s23
	v_add_nc_u64_e32 v[12:13], v[12:13], v[14:15]
	v_cndmask_b32_e64 v4, 0, 1, vcc_lo
	s_wait_dscnt 0x0
	v_cmp_gt_i64_e32 vcc_lo, v[2:3], v[8:9]
	v_mov_b32_e32 v9, s23
	s_delay_alu instid0(VALU_DEP_3) | instskip(SKIP_2) | instid1(VALU_DEP_2)
	v_add_nc_u64_e32 v[4:5], v[12:13], v[4:5]
	v_cndmask_b32_e64 v6, 0, 1, vcc_lo
	v_cmp_gt_i64_e32 vcc_lo, v[2:3], v[10:11]
	v_add_nc_u64_e32 v[4:5], v[4:5], v[6:7]
	v_cndmask_b32_e64 v8, 0, 1, vcc_lo
	s_delay_alu instid0(VALU_DEP_1)
	v_add_nc_u64_e32 v[4:5], v[4:5], v[8:9]
	s_cbranch_scc0 .LBB52_50
; %bb.51:                               ;   in Loop: Header=BB52_48 Depth=1
	s_mov_b64 s[8:9], s[2:3]
.LBB52_52:                              ;   in Loop: Header=BB52_48 Depth=1
	s_and_not1_b32 vcc_lo, exec_lo, s11
	s_cbranch_vccnz .LBB52_47
; %bb.53:                               ;   in Loop: Header=BB52_48 Depth=1
	s_lshl_b32 s8, s8, 3
	s_delay_alu instid0(SALU_CYCLE_1)
	s_add_co_i32 s13, s8, 0
	s_mov_b64 s[8:9], s[6:7]
.LBB52_54:                              ;   Parent Loop BB52_48 Depth=1
                                        ; =>  This Inner Loop Header: Depth=2
	v_dual_mov_b32 v6, s13 :: v_dual_mov_b32 v9, s23
	s_add_nc_u64 s[8:9], s[8:9], -1
	s_add_co_i32 s13, s13, 8
	s_cmp_lg_u64 s[8:9], 0
	ds_load_b64 v[6:7], v6
	s_wait_dscnt 0x0
	v_cmp_gt_i64_e32 vcc_lo, v[2:3], v[6:7]
	v_cndmask_b32_e64 v8, 0, 1, vcc_lo
	s_delay_alu instid0(VALU_DEP_1)
	v_add_nc_u64_e32 v[4:5], v[4:5], v[8:9]
	s_cbranch_scc1 .LBB52_54
	s_branch .LBB52_47
.LBB52_55:
	s_endpgm
	.section	.rodata,"a",@progbits
	.p2align	6, 0x0
	.amdhsa_kernel _ZN9rocsparseL35csrgemm_symbolic_fill_block_per_rowILj128ELj16ELj256ELj137ELj32EllEEvT5_PKS1_S3_PKT4_S3_S6_S3_S6_S3_S6_PS1_21rocsparse_index_base_S8_S8_S8_bb
		.amdhsa_group_segment_fixed_size 0
		.amdhsa_private_segment_fixed_size 0
		.amdhsa_kernarg_size 108
		.amdhsa_user_sgpr_count 2
		.amdhsa_user_sgpr_dispatch_ptr 0
		.amdhsa_user_sgpr_queue_ptr 0
		.amdhsa_user_sgpr_kernarg_segment_ptr 1
		.amdhsa_user_sgpr_dispatch_id 0
		.amdhsa_user_sgpr_kernarg_preload_length 0
		.amdhsa_user_sgpr_kernarg_preload_offset 0
		.amdhsa_user_sgpr_private_segment_size 0
		.amdhsa_wavefront_size32 1
		.amdhsa_uses_dynamic_stack 0
		.amdhsa_enable_private_segment 0
		.amdhsa_system_sgpr_workgroup_id_x 1
		.amdhsa_system_sgpr_workgroup_id_y 0
		.amdhsa_system_sgpr_workgroup_id_z 0
		.amdhsa_system_sgpr_workgroup_info 0
		.amdhsa_system_vgpr_workitem_id 0
		.amdhsa_next_free_vgpr 19
		.amdhsa_next_free_sgpr 40
		.amdhsa_named_barrier_count 0
		.amdhsa_reserve_vcc 1
		.amdhsa_float_round_mode_32 0
		.amdhsa_float_round_mode_16_64 0
		.amdhsa_float_denorm_mode_32 3
		.amdhsa_float_denorm_mode_16_64 3
		.amdhsa_fp16_overflow 0
		.amdhsa_memory_ordered 1
		.amdhsa_forward_progress 1
		.amdhsa_inst_pref_size 17
		.amdhsa_round_robin_scheduling 0
		.amdhsa_exception_fp_ieee_invalid_op 0
		.amdhsa_exception_fp_denorm_src 0
		.amdhsa_exception_fp_ieee_div_zero 0
		.amdhsa_exception_fp_ieee_overflow 0
		.amdhsa_exception_fp_ieee_underflow 0
		.amdhsa_exception_fp_ieee_inexact 0
		.amdhsa_exception_int_div_zero 0
	.end_amdhsa_kernel
	.section	.text._ZN9rocsparseL35csrgemm_symbolic_fill_block_per_rowILj128ELj16ELj256ELj137ELj32EllEEvT5_PKS1_S3_PKT4_S3_S6_S3_S6_S3_S6_PS1_21rocsparse_index_base_S8_S8_S8_bb,"axG",@progbits,_ZN9rocsparseL35csrgemm_symbolic_fill_block_per_rowILj128ELj16ELj256ELj137ELj32EllEEvT5_PKS1_S3_PKT4_S3_S6_S3_S6_S3_S6_PS1_21rocsparse_index_base_S8_S8_S8_bb,comdat
.Lfunc_end52:
	.size	_ZN9rocsparseL35csrgemm_symbolic_fill_block_per_rowILj128ELj16ELj256ELj137ELj32EllEEvT5_PKS1_S3_PKT4_S3_S6_S3_S6_S3_S6_PS1_21rocsparse_index_base_S8_S8_S8_bb, .Lfunc_end52-_ZN9rocsparseL35csrgemm_symbolic_fill_block_per_rowILj128ELj16ELj256ELj137ELj32EllEEvT5_PKS1_S3_PKT4_S3_S6_S3_S6_S3_S6_PS1_21rocsparse_index_base_S8_S8_S8_bb
                                        ; -- End function
	.set _ZN9rocsparseL35csrgemm_symbolic_fill_block_per_rowILj128ELj16ELj256ELj137ELj32EllEEvT5_PKS1_S3_PKT4_S3_S6_S3_S6_S3_S6_PS1_21rocsparse_index_base_S8_S8_S8_bb.num_vgpr, 19
	.set _ZN9rocsparseL35csrgemm_symbolic_fill_block_per_rowILj128ELj16ELj256ELj137ELj32EllEEvT5_PKS1_S3_PKT4_S3_S6_S3_S6_S3_S6_PS1_21rocsparse_index_base_S8_S8_S8_bb.num_agpr, 0
	.set _ZN9rocsparseL35csrgemm_symbolic_fill_block_per_rowILj128ELj16ELj256ELj137ELj32EllEEvT5_PKS1_S3_PKT4_S3_S6_S3_S6_S3_S6_PS1_21rocsparse_index_base_S8_S8_S8_bb.numbered_sgpr, 40
	.set _ZN9rocsparseL35csrgemm_symbolic_fill_block_per_rowILj128ELj16ELj256ELj137ELj32EllEEvT5_PKS1_S3_PKT4_S3_S6_S3_S6_S3_S6_PS1_21rocsparse_index_base_S8_S8_S8_bb.num_named_barrier, 0
	.set _ZN9rocsparseL35csrgemm_symbolic_fill_block_per_rowILj128ELj16ELj256ELj137ELj32EllEEvT5_PKS1_S3_PKT4_S3_S6_S3_S6_S3_S6_PS1_21rocsparse_index_base_S8_S8_S8_bb.private_seg_size, 0
	.set _ZN9rocsparseL35csrgemm_symbolic_fill_block_per_rowILj128ELj16ELj256ELj137ELj32EllEEvT5_PKS1_S3_PKT4_S3_S6_S3_S6_S3_S6_PS1_21rocsparse_index_base_S8_S8_S8_bb.uses_vcc, 1
	.set _ZN9rocsparseL35csrgemm_symbolic_fill_block_per_rowILj128ELj16ELj256ELj137ELj32EllEEvT5_PKS1_S3_PKT4_S3_S6_S3_S6_S3_S6_PS1_21rocsparse_index_base_S8_S8_S8_bb.uses_flat_scratch, 0
	.set _ZN9rocsparseL35csrgemm_symbolic_fill_block_per_rowILj128ELj16ELj256ELj137ELj32EllEEvT5_PKS1_S3_PKT4_S3_S6_S3_S6_S3_S6_PS1_21rocsparse_index_base_S8_S8_S8_bb.has_dyn_sized_stack, 0
	.set _ZN9rocsparseL35csrgemm_symbolic_fill_block_per_rowILj128ELj16ELj256ELj137ELj32EllEEvT5_PKS1_S3_PKT4_S3_S6_S3_S6_S3_S6_PS1_21rocsparse_index_base_S8_S8_S8_bb.has_recursion, 0
	.set _ZN9rocsparseL35csrgemm_symbolic_fill_block_per_rowILj128ELj16ELj256ELj137ELj32EllEEvT5_PKS1_S3_PKT4_S3_S6_S3_S6_S3_S6_PS1_21rocsparse_index_base_S8_S8_S8_bb.has_indirect_call, 0
	.section	.AMDGPU.csdata,"",@progbits
; Kernel info:
; codeLenInByte = 2172
; TotalNumSgprs: 42
; NumVgprs: 19
; ScratchSize: 0
; MemoryBound: 0
; FloatMode: 240
; IeeeMode: 1
; LDSByteSize: 0 bytes/workgroup (compile time only)
; SGPRBlocks: 0
; VGPRBlocks: 1
; NumSGPRsForWavesPerEU: 42
; NumVGPRsForWavesPerEU: 19
; NamedBarCnt: 0
; Occupancy: 16
; WaveLimiterHint : 1
; COMPUTE_PGM_RSRC2:SCRATCH_EN: 0
; COMPUTE_PGM_RSRC2:USER_SGPR: 2
; COMPUTE_PGM_RSRC2:TRAP_HANDLER: 0
; COMPUTE_PGM_RSRC2:TGID_X_EN: 1
; COMPUTE_PGM_RSRC2:TGID_Y_EN: 0
; COMPUTE_PGM_RSRC2:TGID_Z_EN: 0
; COMPUTE_PGM_RSRC2:TIDIG_COMP_CNT: 0
	.section	.text._ZN9rocsparseL35csrgemm_symbolic_fill_block_per_rowILj128ELj16ELj256ELj137ELj64EllEEvT5_PKS1_S3_PKT4_S3_S6_S3_S6_S3_S6_PS1_21rocsparse_index_base_S8_S8_S8_bb,"axG",@progbits,_ZN9rocsparseL35csrgemm_symbolic_fill_block_per_rowILj128ELj16ELj256ELj137ELj64EllEEvT5_PKS1_S3_PKT4_S3_S6_S3_S6_S3_S6_PS1_21rocsparse_index_base_S8_S8_S8_bb,comdat
	.globl	_ZN9rocsparseL35csrgemm_symbolic_fill_block_per_rowILj128ELj16ELj256ELj137ELj64EllEEvT5_PKS1_S3_PKT4_S3_S6_S3_S6_S3_S6_PS1_21rocsparse_index_base_S8_S8_S8_bb ; -- Begin function _ZN9rocsparseL35csrgemm_symbolic_fill_block_per_rowILj128ELj16ELj256ELj137ELj64EllEEvT5_PKS1_S3_PKT4_S3_S6_S3_S6_S3_S6_PS1_21rocsparse_index_base_S8_S8_S8_bb
	.p2align	8
	.type	_ZN9rocsparseL35csrgemm_symbolic_fill_block_per_rowILj128ELj16ELj256ELj137ELj64EllEEvT5_PKS1_S3_PKT4_S3_S6_S3_S6_S3_S6_PS1_21rocsparse_index_base_S8_S8_S8_bb,@function
_ZN9rocsparseL35csrgemm_symbolic_fill_block_per_rowILj128ELj16ELj256ELj137ELj64EllEEvT5_PKS1_S3_PKT4_S3_S6_S3_S6_S3_S6_PS1_21rocsparse_index_base_S8_S8_S8_bb: ; @_ZN9rocsparseL35csrgemm_symbolic_fill_block_per_rowILj128ELj16ELj256ELj137ELj64EllEEvT5_PKS1_S3_PKT4_S3_S6_S3_S6_S3_S6_PS1_21rocsparse_index_base_S8_S8_S8_bb
; %bb.0:
	s_load_b128 s[24:27], s[0:1], 0x0
	v_cmp_gt_u32_e64 s2, 0x100, v0
	v_or_b32_e32 v13, 0xffffff80, v0
	v_lshl_add_u32 v16, v0, 3, 0
	s_and_saveexec_b32 s3, s2
	s_cbranch_execz .LBB53_3
; %bb.1:
	s_wait_kmcnt 0x0
	v_mov_b64_e32 v[2:3], s[24:25]
	v_or_b32_e32 v1, 0xffffff80, v0
	v_lshl_add_u32 v4, v0, 3, 0
	s_mov_b32 s4, 0
.LBB53_2:                               ; =>This Inner Loop Header: Depth=1
	s_delay_alu instid0(VALU_DEP_2) | instskip(SKIP_4) | instid1(SALU_CYCLE_1)
	v_add_co_u32 v1, s5, 0x80, v1
	s_xor_b32 s5, s5, -1
	ds_store_b64 v4, v[2:3]
	v_add_nc_u32_e32 v4, 0x400, v4
	s_and_b32 s5, exec_lo, s5
	s_or_b32 s4, s5, s4
	s_delay_alu instid0(SALU_CYCLE_1)
	s_and_not1_b32 exec_lo, exec_lo, s4
	s_cbranch_execnz .LBB53_2
.LBB53_3:
	s_or_b32 exec_lo, exec_lo, s3
	s_clause 0x3
	s_load_b64 s[28:29], s[0:1], 0x50
	s_load_b256 s[4:11], s[0:1], 0x30
	s_load_b256 s[12:19], s[0:1], 0x10
	s_load_b32 s3, s[0:1], 0x68
	s_wait_dscnt 0x0
	s_barrier_signal -1
	s_barrier_wait -1
	s_wait_kmcnt 0x0
	s_load_b64 s[20:21], s[26:27], 0x0
	s_wait_xcnt 0x0
	s_getreg_b32 s26, hwreg(HW_REG_IB_STS2, 6, 4)
	s_bitcmp1_b32 s3, 0
	s_cselect_b32 s30, -1, 0
	s_bfe_u32 s22, ttmp6, 0x4000c
	s_and_b32 s23, ttmp6, 15
	s_add_co_i32 s22, s22, 1
	s_wait_kmcnt 0x0
	s_lshl_b64 s[20:21], s[20:21], 3
	s_mul_i32 s22, ttmp9, s22
	s_delay_alu instid0(SALU_CYCLE_1)
	s_add_co_i32 s23, s23, s22
	s_cmp_eq_u32 s26, 0
	s_add_nc_u64 s[26:27], s[12:13], s[20:21]
	s_cselect_b32 s31, ttmp9, s23
	s_load_b128 s[20:23], s[0:1], 0x58
	s_load_b64 s[12:13], s[26:27], s31 offset:0x0 scale_offset
	s_and_b32 vcc_lo, exec_lo, s30
	s_wait_xcnt 0x0
	s_mov_b32 s1, 0
	s_cbranch_vccz .LBB53_19
; %bb.4:
	s_wait_kmcnt 0x0
	s_lshl_b64 s[26:27], s[12:13], 3
	v_dual_mov_b32 v5, 0 :: v_dual_lshrrev_b32 v4, 4, v0
	s_add_nc_u64 s[14:15], s[14:15], s[26:27]
	s_mov_b32 s0, s20
	s_load_b128 s[36:39], s[14:15], 0x0
	s_mov_b32 s20, exec_lo
	v_sub_nc_u64_e64 v[2:3], v[4:5], s[0:1]
	s_wait_kmcnt 0x0
	s_delay_alu instid0(VALU_DEP_1)
	v_add_nc_u64_e32 v[2:3], s[36:37], v[2:3]
	s_sub_nc_u64 s[14:15], s[38:39], s[0:1]
	s_delay_alu instid0(VALU_DEP_1) | instid1(SALU_CYCLE_1)
	v_cmpx_gt_i64_e64 s[14:15], v[2:3]
	s_cbranch_execz .LBB53_18
; %bb.5:
	v_and_b32_e32 v4, 15, v0
	s_mov_b32 s27, 0
	s_mov_b32 s26, s21
	;; [unrolled: 1-line block ×3, first 2 shown]
	s_delay_alu instid0(VALU_DEP_1)
	v_sub_nc_u64_e64 v[4:5], v[4:5], s[26:27]
	s_branch .LBB53_7
.LBB53_6:                               ;   in Loop: Header=BB53_7 Depth=1
	s_or_b32 exec_lo, exec_lo, s30
	v_add_nc_u64_e32 v[2:3], 8, v[2:3]
	s_delay_alu instid0(VALU_DEP_1) | instskip(SKIP_1) | instid1(SALU_CYCLE_1)
	v_cmp_le_i64_e32 vcc_lo, s[14:15], v[2:3]
	s_or_b32 s21, vcc_lo, s21
	s_and_not1_b32 exec_lo, exec_lo, s21
	s_cbranch_execz .LBB53_18
.LBB53_7:                               ; =>This Loop Header: Depth=1
                                        ;     Child Loop BB53_10 Depth 2
                                        ;       Child Loop BB53_13 Depth 3
	v_lshl_add_u64 v[6:7], v[2:3], 3, s[16:17]
	s_mov_b32 s30, exec_lo
	global_load_b64 v[6:7], v[6:7], off
	s_wait_loadcnt 0x0
	v_sub_nc_u64_e64 v[6:7], v[6:7], s[0:1]
	s_delay_alu instid0(VALU_DEP_1) | instskip(SKIP_4) | instid1(VALU_DEP_1)
	v_lshl_add_u64 v[6:7], v[6:7], 3, s[18:19]
	global_load_b128 v[8:11], v[6:7], off
	s_wait_loadcnt 0x0
	v_sub_nc_u64_e64 v[6:7], v[10:11], s[26:27]
	v_add_nc_u64_e32 v[8:9], v[8:9], v[4:5]
	v_cmpx_lt_i64_e64 v[8:9], v[6:7]
	s_cbranch_execz .LBB53_6
; %bb.8:                                ;   in Loop: Header=BB53_7 Depth=1
	s_mov_b32 s31, 0
	s_branch .LBB53_10
.LBB53_9:                               ;   in Loop: Header=BB53_10 Depth=2
	s_or_b32 exec_lo, exec_lo, s33
	v_add_nc_u64_e32 v[8:9], 16, v[8:9]
	s_delay_alu instid0(VALU_DEP_1) | instskip(SKIP_1) | instid1(SALU_CYCLE_1)
	v_cmp_ge_i64_e32 vcc_lo, v[8:9], v[6:7]
	s_or_b32 s31, vcc_lo, s31
	s_and_not1_b32 exec_lo, exec_lo, s31
	s_cbranch_execz .LBB53_6
.LBB53_10:                              ;   Parent Loop BB53_7 Depth=1
                                        ; =>  This Loop Header: Depth=2
                                        ;       Child Loop BB53_13 Depth 3
	v_lshl_add_u64 v[10:11], v[8:9], 3, s[4:5]
	s_mov_b32 s33, 0
                                        ; implicit-def: $sgpr34
	global_load_b64 v[10:11], v[10:11], off
	s_wait_loadcnt 0x0
	v_sub_nc_u64_e64 v[10:11], v[10:11], s[26:27]
	s_delay_alu instid0(VALU_DEP_1) | instskip(NEXT) | instid1(VALU_DEP_1)
	v_mul_lo_u32 v1, 0x89, v10
	v_and_b32_e32 v12, 0xff, v1
	s_branch .LBB53_13
.LBB53_11:                              ;   in Loop: Header=BB53_13 Depth=3
	s_or_b32 exec_lo, exec_lo, s36
	s_delay_alu instid0(SALU_CYCLE_1) | instskip(SKIP_1) | instid1(SALU_CYCLE_1)
	s_and_not1_b32 s34, s34, exec_lo
	s_and_b32 s36, s37, exec_lo
	s_or_b32 s34, s34, s36
.LBB53_12:                              ;   in Loop: Header=BB53_13 Depth=3
	s_or_b32 exec_lo, exec_lo, s35
	s_xor_b32 s35, s34, -1
	s_delay_alu instid0(SALU_CYCLE_1) | instskip(NEXT) | instid1(SALU_CYCLE_1)
	s_and_b32 s35, exec_lo, s35
	s_or_b32 s33, s35, s33
	s_delay_alu instid0(SALU_CYCLE_1)
	s_and_not1_b32 exec_lo, exec_lo, s33
	s_cbranch_execz .LBB53_9
.LBB53_13:                              ;   Parent Loop BB53_7 Depth=1
                                        ;     Parent Loop BB53_10 Depth=2
                                        ; =>    This Inner Loop Header: Depth=3
	s_delay_alu instid0(VALU_DEP_1)
	v_lshl_add_u32 v1, v12, 3, 0
	s_and_not1_b32 s34, s34, exec_lo
	s_mov_b32 s35, exec_lo
	ds_load_b64 v[14:15], v1
	s_wait_dscnt 0x0
	v_cmpx_ne_u64_e64 v[14:15], v[10:11]
	s_cbranch_execz .LBB53_12
; %bb.14:                               ;   in Loop: Header=BB53_13 Depth=3
	s_mov_b32 s36, exec_lo
	v_cmpx_ne_u64_e64 s[24:25], v[14:15]
	s_xor_b32 s36, exec_lo, s36
; %bb.15:                               ;   in Loop: Header=BB53_13 Depth=3
	v_add_nc_u32_e32 v1, 1, v12
	s_delay_alu instid0(VALU_DEP_1)
	v_and_b32_e32 v12, 0xff, v1
                                        ; implicit-def: $vgpr1
; %bb.16:                               ;   in Loop: Header=BB53_13 Depth=3
	s_or_saveexec_b32 s36, s36
	s_mov_b32 s37, -1
	s_xor_b32 exec_lo, exec_lo, s36
	s_cbranch_execz .LBB53_11
; %bb.17:                               ;   in Loop: Header=BB53_13 Depth=3
	v_mov_b64_e32 v[14:15], s[24:25]
	ds_cmpstore_rtn_b64 v[14:15], v1, v[10:11], v[14:15]
	s_wait_dscnt 0x0
	v_cmp_ne_u64_e32 vcc_lo, s[24:25], v[14:15]
	s_or_not1_b32 s37, vcc_lo, exec_lo
	s_branch .LBB53_11
.LBB53_18:
	s_or_b32 exec_lo, exec_lo, s20
.LBB53_19:
	s_bfe_u32 s0, s3, 0x10008
	s_delay_alu instid0(SALU_CYCLE_1)
	s_cmp_eq_u32 s0, 0
	s_cbranch_scc1 .LBB53_32
; %bb.20:
	s_wait_kmcnt 0x0
	s_lshl_b64 s[0:1], s[12:13], 3
	v_mov_b32_e32 v1, 0
	s_add_nc_u64 s[0:1], s[6:7], s[0:1]
	s_mov_b32 s3, exec_lo
	s_load_b128 s[4:7], s[0:1], 0x0
	s_wait_xcnt 0x0
	s_mov_b32 s1, 0
	s_mov_b32 s0, s23
	s_delay_alu instid0(SALU_CYCLE_1) | instskip(SKIP_1) | instid1(VALU_DEP_1)
	v_sub_nc_u64_e64 v[2:3], v[0:1], s[0:1]
	s_wait_kmcnt 0x0
	v_add_nc_u64_e32 v[2:3], s[4:5], v[2:3]
	s_sub_nc_u64 s[4:5], s[6:7], s[0:1]
	s_delay_alu instid0(VALU_DEP_1) | instid1(SALU_CYCLE_1)
	v_cmpx_gt_i64_e64 s[4:5], v[2:3]
	s_cbranch_execz .LBB53_31
; %bb.21:
	s_mov_b32 s6, s1
	s_branch .LBB53_23
.LBB53_22:                              ;   in Loop: Header=BB53_23 Depth=1
	s_or_b32 exec_lo, exec_lo, s7
	v_add_nc_u64_e32 v[2:3], 0x80, v[2:3]
	s_delay_alu instid0(VALU_DEP_1) | instskip(SKIP_1) | instid1(SALU_CYCLE_1)
	v_cmp_le_i64_e32 vcc_lo, s[4:5], v[2:3]
	s_or_b32 s6, vcc_lo, s6
	s_and_not1_b32 exec_lo, exec_lo, s6
	s_cbranch_execz .LBB53_31
.LBB53_23:                              ; =>This Loop Header: Depth=1
                                        ;     Child Loop BB53_26 Depth 2
	v_lshl_add_u64 v[4:5], v[2:3], 3, s[8:9]
	s_mov_b32 s7, 0
                                        ; implicit-def: $sgpr14
	global_load_b64 v[4:5], v[4:5], off
	s_wait_loadcnt 0x0
	v_sub_nc_u64_e64 v[4:5], v[4:5], s[0:1]
	s_delay_alu instid0(VALU_DEP_1) | instskip(NEXT) | instid1(VALU_DEP_1)
	v_mul_lo_u32 v1, 0x89, v4
	v_and_b32_e32 v6, 0xff, v1
	s_branch .LBB53_26
.LBB53_24:                              ;   in Loop: Header=BB53_26 Depth=2
	s_or_b32 exec_lo, exec_lo, s16
	s_delay_alu instid0(SALU_CYCLE_1) | instskip(SKIP_1) | instid1(SALU_CYCLE_1)
	s_and_not1_b32 s14, s14, exec_lo
	s_and_b32 s16, s17, exec_lo
	s_or_b32 s14, s14, s16
.LBB53_25:                              ;   in Loop: Header=BB53_26 Depth=2
	s_or_b32 exec_lo, exec_lo, s15
	s_xor_b32 s15, s14, -1
	s_delay_alu instid0(SALU_CYCLE_1) | instskip(NEXT) | instid1(SALU_CYCLE_1)
	s_and_b32 s15, exec_lo, s15
	s_or_b32 s7, s15, s7
	s_delay_alu instid0(SALU_CYCLE_1)
	s_and_not1_b32 exec_lo, exec_lo, s7
	s_cbranch_execz .LBB53_22
.LBB53_26:                              ;   Parent Loop BB53_23 Depth=1
                                        ; =>  This Inner Loop Header: Depth=2
	s_delay_alu instid0(VALU_DEP_1)
	v_lshl_add_u32 v1, v6, 3, 0
	s_and_not1_b32 s14, s14, exec_lo
	s_mov_b32 s15, exec_lo
	ds_load_b64 v[8:9], v1
	s_wait_dscnt 0x0
	v_cmpx_ne_u64_e64 v[8:9], v[4:5]
	s_cbranch_execz .LBB53_25
; %bb.27:                               ;   in Loop: Header=BB53_26 Depth=2
	s_mov_b32 s16, exec_lo
	v_cmpx_ne_u64_e64 s[24:25], v[8:9]
	s_xor_b32 s16, exec_lo, s16
; %bb.28:                               ;   in Loop: Header=BB53_26 Depth=2
	v_add_nc_u32_e32 v1, 1, v6
	s_delay_alu instid0(VALU_DEP_1)
	v_and_b32_e32 v6, 0xff, v1
                                        ; implicit-def: $vgpr1
; %bb.29:                               ;   in Loop: Header=BB53_26 Depth=2
	s_or_saveexec_b32 s16, s16
	s_mov_b32 s17, -1
	s_xor_b32 exec_lo, exec_lo, s16
	s_cbranch_execz .LBB53_24
; %bb.30:                               ;   in Loop: Header=BB53_26 Depth=2
	v_mov_b64_e32 v[8:9], s[24:25]
	ds_cmpstore_rtn_b64 v[8:9], v1, v[4:5], v[8:9]
	s_wait_dscnt 0x0
	v_cmp_ne_u64_e32 vcc_lo, s[24:25], v[8:9]
	s_or_not1_b32 s17, vcc_lo, exec_lo
	s_branch .LBB53_24
.LBB53_31:
	s_or_b32 exec_lo, exec_lo, s3
.LBB53_32:
	s_barrier_signal -1
	s_barrier_wait -1
	s_and_saveexec_b32 s3, s2
	s_cbranch_execz .LBB53_41
; %bb.33:
	v_mbcnt_lo_u32_b32 v1, -1, 0
	v_lshrrev_b32_e32 v2, 3, v0
	v_mov_b64_e32 v[4:5], 0
	v_cmp_eq_u32_e64 s0, 0x7f, v0
	s_mov_b32 s2, 0
	v_xor_b32_e32 v1, 31, v1
	v_dual_mov_b32 v3, 0 :: v_dual_bitop2_b32 v2, 8, v2 bitop3:0x40
	v_cmp_lt_u32_e32 vcc_lo, 63, v0
	s_delay_alu instid0(VALU_DEP_3) | instskip(NEXT) | instid1(VALU_DEP_3)
	v_lshrrev_b32_e64 v6, v1, -1
	v_add_nc_u32_e32 v1, 0, v2
	s_branch .LBB53_35
.LBB53_34:                              ;   in Loop: Header=BB53_35 Depth=1
	s_or_b32 exec_lo, exec_lo, s1
	s_wait_dscnt 0x0
	s_barrier_signal -1
	s_barrier_wait -1
	ds_load_b64 v[8:9], v3 offset:2056
	v_add_co_u32 v13, s1, 0x80, v13
	s_xor_b32 s1, s1, -1
	v_add_nc_u32_e32 v16, 0x400, v16
	s_and_b32 s1, exec_lo, s1
	s_delay_alu instid0(SALU_CYCLE_1)
	s_or_b32 s2, s1, s2
	s_wait_dscnt 0x0
	v_add_nc_u64_e32 v[4:5], v[8:9], v[4:5]
	s_and_not1_b32 exec_lo, exec_lo, s2
	s_cbranch_execz .LBB53_41
.LBB53_35:                              ; =>This Inner Loop Header: Depth=1
	ds_load_b64 v[8:9], v16
	s_wait_dscnt 0x0
	s_barrier_signal -1
	s_barrier_wait -1
	v_cmp_gt_i64_e64 s1, s[24:25], v[8:9]
	s_bcnt1_i32_b32 s4, s1
	s_delay_alu instid0(SALU_CYCLE_1) | instskip(NEXT) | instid1(VALU_DEP_1)
	v_dual_mov_b32 v2, s4 :: v_dual_bitop2_b32 v7, s1, v6 bitop3:0x40
	v_bcnt_u32_b32 v10, v7, 0
	ds_store_b64 v1, v[2:3] offset:2048
	s_wait_dscnt 0x0
	s_barrier_signal -1
	s_barrier_wait -1
	s_and_saveexec_b32 s4, vcc_lo
	s_cbranch_execnz .LBB53_38
; %bb.36:                               ;   in Loop: Header=BB53_35 Depth=1
	s_or_b32 exec_lo, exec_lo, s4
	v_ashrrev_i32_e32 v11, 31, v10
	s_and_saveexec_b32 s4, s1
	s_cbranch_execnz .LBB53_39
.LBB53_37:                              ;   in Loop: Header=BB53_35 Depth=1
	s_or_b32 exec_lo, exec_lo, s4
	s_and_saveexec_b32 s1, s0
	s_cbranch_execz .LBB53_34
	s_branch .LBB53_40
.LBB53_38:                              ;   in Loop: Header=BB53_35 Depth=1
	ds_load_b32 v2, v3 offset:2048
	s_wait_dscnt 0x0
	v_add_nc_u32_e32 v10, v2, v10
	s_or_b32 exec_lo, exec_lo, s4
	s_delay_alu instid0(VALU_DEP_1)
	v_ashrrev_i32_e32 v11, 31, v10
	s_and_saveexec_b32 s4, s1
	s_cbranch_execz .LBB53_37
.LBB53_39:                              ;   in Loop: Header=BB53_35 Depth=1
	v_dual_lshlrev_b32 v2, 3, v4 :: v_dual_lshlrev_b32 v7, 3, v10
	s_delay_alu instid0(VALU_DEP_1) | instskip(NEXT) | instid1(VALU_DEP_1)
	v_add_nc_u32_e32 v2, 0, v2
	v_add3_u32 v2, v2, v7, -8
	ds_store_b64 v2, v[8:9]
	s_or_b32 exec_lo, exec_lo, s4
	s_and_saveexec_b32 s1, s0
	s_cbranch_execz .LBB53_34
.LBB53_40:                              ;   in Loop: Header=BB53_35 Depth=1
	ds_store_b64 v3, v[10:11] offset:2056
	s_branch .LBB53_34
.LBB53_41:
	s_or_b32 exec_lo, exec_lo, s3
	s_wait_kmcnt 0x0
	s_lshl_b64 s[0:1], s[12:13], 3
	v_mov_b32_e32 v1, 0
	s_add_nc_u64 s[4:5], s[10:11], s[0:1]
	s_mov_b32 s6, exec_lo
	s_load_b128 s[0:3], s[4:5], 0x0
	s_wait_kmcnt 0x0
	s_sub_nc_u64 s[4:5], s[2:3], s[0:1]
	s_delay_alu instid0(SALU_CYCLE_1)
	v_cmpx_gt_i64_e64 s[4:5], v[0:1]
	s_cbranch_execz .LBB53_51
; %bb.42:
	s_sub_nc_u64 s[8:9], s[0:1], s[2:3]
	s_and_b64 s[6:7], s[4:5], 7
	v_cmp_lt_u64_e64 s10, s[8:9], -7
	s_and_b64 s[2:3], s[4:5], -8
	s_mov_b32 s23, 0
	s_cmp_lg_u64 s[6:7], 0
	s_sub_nc_u64 s[0:1], s[0:1], s[22:23]
	s_cselect_b32 s11, -1, 0
	s_mov_b32 s12, s23
	s_branch .LBB53_44
.LBB53_43:                              ;   in Loop: Header=BB53_44 Depth=1
	v_add_nc_u64_e32 v[0:1], 0x80, v[0:1]
	s_wait_dscnt 0x0
	v_add_nc_u64_e32 v[2:3], s[22:23], v[2:3]
	s_delay_alu instid0(VALU_DEP_3) | instskip(NEXT) | instid1(VALU_DEP_3)
	v_lshl_add_u64 v[4:5], v[4:5], 3, s[28:29]
	v_cmp_le_i64_e32 vcc_lo, s[4:5], v[0:1]
	global_store_b64 v[4:5], v[2:3], off
	s_or_b32 s12, vcc_lo, s12
	s_wait_xcnt 0x0
	s_and_not1_b32 exec_lo, exec_lo, s12
	s_cbranch_execz .LBB53_51
.LBB53_44:                              ; =>This Loop Header: Depth=1
                                        ;     Child Loop BB53_46 Depth 2
                                        ;     Child Loop BB53_50 Depth 2
	v_lshl_add_u32 v2, v0, 3, 0
	v_mov_b64_e32 v[4:5], s[0:1]
	s_and_not1_b32 vcc_lo, exec_lo, s10
	s_mov_b64 s[8:9], 0
	ds_load_b64 v[2:3], v2
	s_cbranch_vccnz .LBB53_48
; %bb.45:                               ;   in Loop: Header=BB53_44 Depth=1
	v_mov_b64_e32 v[4:5], s[0:1]
	s_mov_b32 s13, 0
.LBB53_46:                              ;   Parent Loop BB53_44 Depth=1
                                        ; =>  This Inner Loop Header: Depth=2
	s_delay_alu instid0(SALU_CYCLE_1)
	v_dual_mov_b32 v18, s13 :: v_dual_mov_b32 v15, s23
	v_mov_b32_e32 v17, s23
	s_add_nc_u64 s[8:9], s[8:9], 8
	s_add_co_i32 s13, s13, 64
	ds_load_2addr_b64 v[6:9], v18 offset1:1
	ds_load_2addr_b64 v[10:13], v18 offset0:2 offset1:3
	s_cmp_eq_u64 s[2:3], s[8:9]
	s_wait_dscnt 0x1
	v_cmp_gt_i64_e32 vcc_lo, v[2:3], v[6:7]
	v_cndmask_b32_e64 v14, 0, 1, vcc_lo
	v_cmp_gt_i64_e32 vcc_lo, v[2:3], v[8:9]
	s_delay_alu instid0(VALU_DEP_2) | instskip(SKIP_4) | instid1(VALU_DEP_2)
	v_add_nc_u64_e32 v[8:9], v[4:5], v[14:15]
	ds_load_2addr_b64 v[4:7], v18 offset0:4 offset1:5
	v_cndmask_b32_e64 v16, 0, 1, vcc_lo
	s_wait_dscnt 0x1
	v_cmp_gt_i64_e32 vcc_lo, v[2:3], v[10:11]
	v_add_nc_u64_e32 v[8:9], v[8:9], v[16:17]
	v_cndmask_b32_e64 v14, 0, 1, vcc_lo
	v_cmp_gt_i64_e32 vcc_lo, v[2:3], v[12:13]
	s_delay_alu instid0(VALU_DEP_2)
	v_add_nc_u64_e32 v[12:13], v[8:9], v[14:15]
	ds_load_2addr_b64 v[8:11], v18 offset0:6 offset1:7
	v_cndmask_b32_e64 v16, 0, 1, vcc_lo
	s_wait_dscnt 0x1
	v_cmp_gt_i64_e32 vcc_lo, v[2:3], v[4:5]
	v_mov_b32_e32 v5, s23
	s_delay_alu instid0(VALU_DEP_3) | instskip(SKIP_3) | instid1(VALU_DEP_3)
	v_add_nc_u64_e32 v[12:13], v[12:13], v[16:17]
	v_cndmask_b32_e64 v14, 0, 1, vcc_lo
	v_cmp_gt_i64_e32 vcc_lo, v[2:3], v[6:7]
	v_mov_b32_e32 v7, s23
	v_add_nc_u64_e32 v[12:13], v[12:13], v[14:15]
	v_cndmask_b32_e64 v4, 0, 1, vcc_lo
	s_wait_dscnt 0x0
	v_cmp_gt_i64_e32 vcc_lo, v[2:3], v[8:9]
	v_mov_b32_e32 v9, s23
	s_delay_alu instid0(VALU_DEP_3) | instskip(SKIP_2) | instid1(VALU_DEP_2)
	v_add_nc_u64_e32 v[4:5], v[12:13], v[4:5]
	v_cndmask_b32_e64 v6, 0, 1, vcc_lo
	v_cmp_gt_i64_e32 vcc_lo, v[2:3], v[10:11]
	v_add_nc_u64_e32 v[4:5], v[4:5], v[6:7]
	v_cndmask_b32_e64 v8, 0, 1, vcc_lo
	s_delay_alu instid0(VALU_DEP_1)
	v_add_nc_u64_e32 v[4:5], v[4:5], v[8:9]
	s_cbranch_scc0 .LBB53_46
; %bb.47:                               ;   in Loop: Header=BB53_44 Depth=1
	s_mov_b64 s[8:9], s[2:3]
.LBB53_48:                              ;   in Loop: Header=BB53_44 Depth=1
	s_and_not1_b32 vcc_lo, exec_lo, s11
	s_cbranch_vccnz .LBB53_43
; %bb.49:                               ;   in Loop: Header=BB53_44 Depth=1
	s_lshl_b32 s8, s8, 3
	s_delay_alu instid0(SALU_CYCLE_1)
	s_add_co_i32 s13, s8, 0
	s_mov_b64 s[8:9], s[6:7]
.LBB53_50:                              ;   Parent Loop BB53_44 Depth=1
                                        ; =>  This Inner Loop Header: Depth=2
	v_dual_mov_b32 v6, s13 :: v_dual_mov_b32 v9, s23
	s_add_nc_u64 s[8:9], s[8:9], -1
	s_add_co_i32 s13, s13, 8
	s_cmp_lg_u64 s[8:9], 0
	ds_load_b64 v[6:7], v6
	s_wait_dscnt 0x0
	v_cmp_gt_i64_e32 vcc_lo, v[2:3], v[6:7]
	v_cndmask_b32_e64 v8, 0, 1, vcc_lo
	s_delay_alu instid0(VALU_DEP_1)
	v_add_nc_u64_e32 v[4:5], v[4:5], v[8:9]
	s_cbranch_scc1 .LBB53_50
	s_branch .LBB53_43
.LBB53_51:
	s_endpgm
	.section	.rodata,"a",@progbits
	.p2align	6, 0x0
	.amdhsa_kernel _ZN9rocsparseL35csrgemm_symbolic_fill_block_per_rowILj128ELj16ELj256ELj137ELj64EllEEvT5_PKS1_S3_PKT4_S3_S6_S3_S6_S3_S6_PS1_21rocsparse_index_base_S8_S8_S8_bb
		.amdhsa_group_segment_fixed_size 0
		.amdhsa_private_segment_fixed_size 0
		.amdhsa_kernarg_size 108
		.amdhsa_user_sgpr_count 2
		.amdhsa_user_sgpr_dispatch_ptr 0
		.amdhsa_user_sgpr_queue_ptr 0
		.amdhsa_user_sgpr_kernarg_segment_ptr 1
		.amdhsa_user_sgpr_dispatch_id 0
		.amdhsa_user_sgpr_kernarg_preload_length 0
		.amdhsa_user_sgpr_kernarg_preload_offset 0
		.amdhsa_user_sgpr_private_segment_size 0
		.amdhsa_wavefront_size32 1
		.amdhsa_uses_dynamic_stack 0
		.amdhsa_enable_private_segment 0
		.amdhsa_system_sgpr_workgroup_id_x 1
		.amdhsa_system_sgpr_workgroup_id_y 0
		.amdhsa_system_sgpr_workgroup_id_z 0
		.amdhsa_system_sgpr_workgroup_info 0
		.amdhsa_system_vgpr_workitem_id 0
		.amdhsa_next_free_vgpr 19
		.amdhsa_next_free_sgpr 40
		.amdhsa_named_barrier_count 0
		.amdhsa_reserve_vcc 1
		.amdhsa_float_round_mode_32 0
		.amdhsa_float_round_mode_16_64 0
		.amdhsa_float_denorm_mode_32 3
		.amdhsa_float_denorm_mode_16_64 3
		.amdhsa_fp16_overflow 0
		.amdhsa_memory_ordered 1
		.amdhsa_forward_progress 1
		.amdhsa_inst_pref_size 17
		.amdhsa_round_robin_scheduling 0
		.amdhsa_exception_fp_ieee_invalid_op 0
		.amdhsa_exception_fp_denorm_src 0
		.amdhsa_exception_fp_ieee_div_zero 0
		.amdhsa_exception_fp_ieee_overflow 0
		.amdhsa_exception_fp_ieee_underflow 0
		.amdhsa_exception_fp_ieee_inexact 0
		.amdhsa_exception_int_div_zero 0
	.end_amdhsa_kernel
	.section	.text._ZN9rocsparseL35csrgemm_symbolic_fill_block_per_rowILj128ELj16ELj256ELj137ELj64EllEEvT5_PKS1_S3_PKT4_S3_S6_S3_S6_S3_S6_PS1_21rocsparse_index_base_S8_S8_S8_bb,"axG",@progbits,_ZN9rocsparseL35csrgemm_symbolic_fill_block_per_rowILj128ELj16ELj256ELj137ELj64EllEEvT5_PKS1_S3_PKT4_S3_S6_S3_S6_S3_S6_PS1_21rocsparse_index_base_S8_S8_S8_bb,comdat
.Lfunc_end53:
	.size	_ZN9rocsparseL35csrgemm_symbolic_fill_block_per_rowILj128ELj16ELj256ELj137ELj64EllEEvT5_PKS1_S3_PKT4_S3_S6_S3_S6_S3_S6_PS1_21rocsparse_index_base_S8_S8_S8_bb, .Lfunc_end53-_ZN9rocsparseL35csrgemm_symbolic_fill_block_per_rowILj128ELj16ELj256ELj137ELj64EllEEvT5_PKS1_S3_PKT4_S3_S6_S3_S6_S3_S6_PS1_21rocsparse_index_base_S8_S8_S8_bb
                                        ; -- End function
	.set _ZN9rocsparseL35csrgemm_symbolic_fill_block_per_rowILj128ELj16ELj256ELj137ELj64EllEEvT5_PKS1_S3_PKT4_S3_S6_S3_S6_S3_S6_PS1_21rocsparse_index_base_S8_S8_S8_bb.num_vgpr, 19
	.set _ZN9rocsparseL35csrgemm_symbolic_fill_block_per_rowILj128ELj16ELj256ELj137ELj64EllEEvT5_PKS1_S3_PKT4_S3_S6_S3_S6_S3_S6_PS1_21rocsparse_index_base_S8_S8_S8_bb.num_agpr, 0
	.set _ZN9rocsparseL35csrgemm_symbolic_fill_block_per_rowILj128ELj16ELj256ELj137ELj64EllEEvT5_PKS1_S3_PKT4_S3_S6_S3_S6_S3_S6_PS1_21rocsparse_index_base_S8_S8_S8_bb.numbered_sgpr, 40
	.set _ZN9rocsparseL35csrgemm_symbolic_fill_block_per_rowILj128ELj16ELj256ELj137ELj64EllEEvT5_PKS1_S3_PKT4_S3_S6_S3_S6_S3_S6_PS1_21rocsparse_index_base_S8_S8_S8_bb.num_named_barrier, 0
	.set _ZN9rocsparseL35csrgemm_symbolic_fill_block_per_rowILj128ELj16ELj256ELj137ELj64EllEEvT5_PKS1_S3_PKT4_S3_S6_S3_S6_S3_S6_PS1_21rocsparse_index_base_S8_S8_S8_bb.private_seg_size, 0
	.set _ZN9rocsparseL35csrgemm_symbolic_fill_block_per_rowILj128ELj16ELj256ELj137ELj64EllEEvT5_PKS1_S3_PKT4_S3_S6_S3_S6_S3_S6_PS1_21rocsparse_index_base_S8_S8_S8_bb.uses_vcc, 1
	.set _ZN9rocsparseL35csrgemm_symbolic_fill_block_per_rowILj128ELj16ELj256ELj137ELj64EllEEvT5_PKS1_S3_PKT4_S3_S6_S3_S6_S3_S6_PS1_21rocsparse_index_base_S8_S8_S8_bb.uses_flat_scratch, 0
	.set _ZN9rocsparseL35csrgemm_symbolic_fill_block_per_rowILj128ELj16ELj256ELj137ELj64EllEEvT5_PKS1_S3_PKT4_S3_S6_S3_S6_S3_S6_PS1_21rocsparse_index_base_S8_S8_S8_bb.has_dyn_sized_stack, 0
	.set _ZN9rocsparseL35csrgemm_symbolic_fill_block_per_rowILj128ELj16ELj256ELj137ELj64EllEEvT5_PKS1_S3_PKT4_S3_S6_S3_S6_S3_S6_PS1_21rocsparse_index_base_S8_S8_S8_bb.has_recursion, 0
	.set _ZN9rocsparseL35csrgemm_symbolic_fill_block_per_rowILj128ELj16ELj256ELj137ELj64EllEEvT5_PKS1_S3_PKT4_S3_S6_S3_S6_S3_S6_PS1_21rocsparse_index_base_S8_S8_S8_bb.has_indirect_call, 0
	.section	.AMDGPU.csdata,"",@progbits
; Kernel info:
; codeLenInByte = 2076
; TotalNumSgprs: 42
; NumVgprs: 19
; ScratchSize: 0
; MemoryBound: 0
; FloatMode: 240
; IeeeMode: 1
; LDSByteSize: 0 bytes/workgroup (compile time only)
; SGPRBlocks: 0
; VGPRBlocks: 1
; NumSGPRsForWavesPerEU: 42
; NumVGPRsForWavesPerEU: 19
; NamedBarCnt: 0
; Occupancy: 16
; WaveLimiterHint : 1
; COMPUTE_PGM_RSRC2:SCRATCH_EN: 0
; COMPUTE_PGM_RSRC2:USER_SGPR: 2
; COMPUTE_PGM_RSRC2:TRAP_HANDLER: 0
; COMPUTE_PGM_RSRC2:TGID_X_EN: 1
; COMPUTE_PGM_RSRC2:TGID_Y_EN: 0
; COMPUTE_PGM_RSRC2:TGID_Z_EN: 0
; COMPUTE_PGM_RSRC2:TIDIG_COMP_CNT: 0
	.section	.text._ZN9rocsparseL35csrgemm_symbolic_fill_block_per_rowILj256ELj32ELj512ELj137ELj32EllEEvT5_PKS1_S3_PKT4_S3_S6_S3_S6_S3_S6_PS1_21rocsparse_index_base_S8_S8_S8_bb,"axG",@progbits,_ZN9rocsparseL35csrgemm_symbolic_fill_block_per_rowILj256ELj32ELj512ELj137ELj32EllEEvT5_PKS1_S3_PKT4_S3_S6_S3_S6_S3_S6_PS1_21rocsparse_index_base_S8_S8_S8_bb,comdat
	.globl	_ZN9rocsparseL35csrgemm_symbolic_fill_block_per_rowILj256ELj32ELj512ELj137ELj32EllEEvT5_PKS1_S3_PKT4_S3_S6_S3_S6_S3_S6_PS1_21rocsparse_index_base_S8_S8_S8_bb ; -- Begin function _ZN9rocsparseL35csrgemm_symbolic_fill_block_per_rowILj256ELj32ELj512ELj137ELj32EllEEvT5_PKS1_S3_PKT4_S3_S6_S3_S6_S3_S6_PS1_21rocsparse_index_base_S8_S8_S8_bb
	.p2align	8
	.type	_ZN9rocsparseL35csrgemm_symbolic_fill_block_per_rowILj256ELj32ELj512ELj137ELj32EllEEvT5_PKS1_S3_PKT4_S3_S6_S3_S6_S3_S6_PS1_21rocsparse_index_base_S8_S8_S8_bb,@function
_ZN9rocsparseL35csrgemm_symbolic_fill_block_per_rowILj256ELj32ELj512ELj137ELj32EllEEvT5_PKS1_S3_PKT4_S3_S6_S3_S6_S3_S6_PS1_21rocsparse_index_base_S8_S8_S8_bb: ; @_ZN9rocsparseL35csrgemm_symbolic_fill_block_per_rowILj256ELj32ELj512ELj137ELj32EllEEvT5_PKS1_S3_PKT4_S3_S6_S3_S6_S3_S6_PS1_21rocsparse_index_base_S8_S8_S8_bb
; %bb.0:
	s_load_b128 s[24:27], s[0:1], 0x0
	v_cmp_gt_u32_e64 s2, 0x200, v0
	v_or_b32_e32 v15, 0xffffff00, v0
	v_lshl_add_u32 v18, v0, 3, 0
	s_and_saveexec_b32 s3, s2
	s_cbranch_execz .LBB54_3
; %bb.1:
	s_wait_kmcnt 0x0
	v_mov_b64_e32 v[2:3], s[24:25]
	v_or_b32_e32 v1, 0xffffff00, v0
	v_lshl_add_u32 v4, v0, 3, 0
	s_mov_b32 s4, 0
.LBB54_2:                               ; =>This Inner Loop Header: Depth=1
	s_delay_alu instid0(VALU_DEP_2) | instskip(SKIP_4) | instid1(SALU_CYCLE_1)
	v_add_co_u32 v1, s5, 0x100, v1
	s_xor_b32 s5, s5, -1
	ds_store_b64 v4, v[2:3]
	v_add_nc_u32_e32 v4, 0x800, v4
	s_and_b32 s5, exec_lo, s5
	s_or_b32 s4, s5, s4
	s_delay_alu instid0(SALU_CYCLE_1)
	s_and_not1_b32 exec_lo, exec_lo, s4
	s_cbranch_execnz .LBB54_2
.LBB54_3:
	s_or_b32 exec_lo, exec_lo, s3
	s_clause 0x3
	s_load_b64 s[28:29], s[0:1], 0x50
	s_load_b256 s[4:11], s[0:1], 0x30
	s_load_b256 s[12:19], s[0:1], 0x10
	s_load_b32 s3, s[0:1], 0x68
	s_wait_dscnt 0x0
	s_barrier_signal -1
	s_barrier_wait -1
	s_wait_kmcnt 0x0
	s_load_b64 s[20:21], s[26:27], 0x0
	s_wait_xcnt 0x0
	s_getreg_b32 s26, hwreg(HW_REG_IB_STS2, 6, 4)
	v_lshrrev_b32_e32 v2, 5, v0
	s_bitcmp1_b32 s3, 0
	s_cselect_b32 s30, -1, 0
	s_bfe_u32 s22, ttmp6, 0x4000c
	s_and_b32 s23, ttmp6, 15
	s_add_co_i32 s22, s22, 1
	s_wait_kmcnt 0x0
	s_lshl_b64 s[20:21], s[20:21], 3
	s_mul_i32 s22, ttmp9, s22
	s_delay_alu instid0(SALU_CYCLE_1)
	s_add_co_i32 s23, s23, s22
	s_cmp_eq_u32 s26, 0
	s_add_nc_u64 s[26:27], s[12:13], s[20:21]
	s_cselect_b32 s31, ttmp9, s23
	s_load_b128 s[20:23], s[0:1], 0x58
	s_load_b64 s[12:13], s[26:27], s31 offset:0x0 scale_offset
	s_and_b32 vcc_lo, exec_lo, s30
	s_wait_xcnt 0x0
	s_mov_b32 s1, 0
	s_cbranch_vccz .LBB54_19
; %bb.4:
	s_wait_kmcnt 0x0
	s_lshl_b64 s[26:27], s[12:13], 3
	v_mov_b32_e32 v3, 0
	s_add_nc_u64 s[14:15], s[14:15], s[26:27]
	s_mov_b32 s0, s20
	s_load_b128 s[36:39], s[14:15], 0x0
	s_mov_b32 s20, exec_lo
	v_sub_nc_u64_e64 v[4:5], v[2:3], s[0:1]
	s_wait_kmcnt 0x0
	s_delay_alu instid0(VALU_DEP_1)
	v_add_nc_u64_e32 v[4:5], s[36:37], v[4:5]
	s_sub_nc_u64 s[14:15], s[38:39], s[0:1]
	s_delay_alu instid0(VALU_DEP_1) | instid1(SALU_CYCLE_1)
	v_cmpx_gt_i64_e64 s[14:15], v[4:5]
	s_cbranch_execz .LBB54_18
; %bb.5:
	v_dual_mov_b32 v7, v3 :: v_dual_bitop2_b32 v6, 31, v0 bitop3:0x40
	s_mov_b32 s27, 0
	s_mov_b32 s26, s21
	;; [unrolled: 1-line block ×3, first 2 shown]
	s_delay_alu instid0(VALU_DEP_1)
	v_sub_nc_u64_e64 v[6:7], v[6:7], s[26:27]
	s_branch .LBB54_7
.LBB54_6:                               ;   in Loop: Header=BB54_7 Depth=1
	s_or_b32 exec_lo, exec_lo, s30
	v_add_nc_u64_e32 v[4:5], 8, v[4:5]
	s_delay_alu instid0(VALU_DEP_1) | instskip(SKIP_1) | instid1(SALU_CYCLE_1)
	v_cmp_le_i64_e32 vcc_lo, s[14:15], v[4:5]
	s_or_b32 s21, vcc_lo, s21
	s_and_not1_b32 exec_lo, exec_lo, s21
	s_cbranch_execz .LBB54_18
.LBB54_7:                               ; =>This Loop Header: Depth=1
                                        ;     Child Loop BB54_10 Depth 2
                                        ;       Child Loop BB54_13 Depth 3
	v_lshl_add_u64 v[8:9], v[4:5], 3, s[16:17]
	s_mov_b32 s30, exec_lo
	global_load_b64 v[8:9], v[8:9], off
	s_wait_loadcnt 0x0
	v_sub_nc_u64_e64 v[8:9], v[8:9], s[0:1]
	s_delay_alu instid0(VALU_DEP_1) | instskip(SKIP_4) | instid1(VALU_DEP_1)
	v_lshl_add_u64 v[8:9], v[8:9], 3, s[18:19]
	global_load_b128 v[10:13], v[8:9], off
	s_wait_loadcnt 0x0
	v_sub_nc_u64_e64 v[8:9], v[12:13], s[26:27]
	v_add_nc_u64_e32 v[10:11], v[10:11], v[6:7]
	v_cmpx_lt_i64_e64 v[10:11], v[8:9]
	s_cbranch_execz .LBB54_6
; %bb.8:                                ;   in Loop: Header=BB54_7 Depth=1
	s_mov_b32 s31, 0
	s_branch .LBB54_10
.LBB54_9:                               ;   in Loop: Header=BB54_10 Depth=2
	s_or_b32 exec_lo, exec_lo, s33
	v_add_nc_u64_e32 v[10:11], 32, v[10:11]
	s_delay_alu instid0(VALU_DEP_1) | instskip(SKIP_1) | instid1(SALU_CYCLE_1)
	v_cmp_ge_i64_e32 vcc_lo, v[10:11], v[8:9]
	s_or_b32 s31, vcc_lo, s31
	s_and_not1_b32 exec_lo, exec_lo, s31
	s_cbranch_execz .LBB54_6
.LBB54_10:                              ;   Parent Loop BB54_7 Depth=1
                                        ; =>  This Loop Header: Depth=2
                                        ;       Child Loop BB54_13 Depth 3
	v_lshl_add_u64 v[12:13], v[10:11], 3, s[4:5]
	s_mov_b32 s33, 0
                                        ; implicit-def: $sgpr34
	global_load_b64 v[12:13], v[12:13], off
	s_wait_loadcnt 0x0
	v_sub_nc_u64_e64 v[12:13], v[12:13], s[26:27]
	s_delay_alu instid0(VALU_DEP_1) | instskip(NEXT) | instid1(VALU_DEP_1)
	v_mul_lo_u32 v1, 0x89, v12
	v_and_b32_e32 v14, 0x1ff, v1
	s_branch .LBB54_13
.LBB54_11:                              ;   in Loop: Header=BB54_13 Depth=3
	s_or_b32 exec_lo, exec_lo, s36
	s_delay_alu instid0(SALU_CYCLE_1) | instskip(SKIP_1) | instid1(SALU_CYCLE_1)
	s_and_not1_b32 s34, s34, exec_lo
	s_and_b32 s36, s37, exec_lo
	s_or_b32 s34, s34, s36
.LBB54_12:                              ;   in Loop: Header=BB54_13 Depth=3
	s_or_b32 exec_lo, exec_lo, s35
	s_xor_b32 s35, s34, -1
	s_delay_alu instid0(SALU_CYCLE_1) | instskip(NEXT) | instid1(SALU_CYCLE_1)
	s_and_b32 s35, exec_lo, s35
	s_or_b32 s33, s35, s33
	s_delay_alu instid0(SALU_CYCLE_1)
	s_and_not1_b32 exec_lo, exec_lo, s33
	s_cbranch_execz .LBB54_9
.LBB54_13:                              ;   Parent Loop BB54_7 Depth=1
                                        ;     Parent Loop BB54_10 Depth=2
                                        ; =>    This Inner Loop Header: Depth=3
	s_delay_alu instid0(VALU_DEP_1)
	v_lshl_add_u32 v1, v14, 3, 0
	s_and_not1_b32 s34, s34, exec_lo
	s_mov_b32 s35, exec_lo
	ds_load_b64 v[16:17], v1
	s_wait_dscnt 0x0
	v_cmpx_ne_u64_e64 v[16:17], v[12:13]
	s_cbranch_execz .LBB54_12
; %bb.14:                               ;   in Loop: Header=BB54_13 Depth=3
	s_mov_b32 s36, exec_lo
	v_cmpx_ne_u64_e64 s[24:25], v[16:17]
	s_xor_b32 s36, exec_lo, s36
; %bb.15:                               ;   in Loop: Header=BB54_13 Depth=3
	v_add_nc_u32_e32 v1, 1, v14
	s_delay_alu instid0(VALU_DEP_1)
	v_and_b32_e32 v14, 0x1ff, v1
                                        ; implicit-def: $vgpr1
; %bb.16:                               ;   in Loop: Header=BB54_13 Depth=3
	s_or_saveexec_b32 s36, s36
	s_mov_b32 s37, -1
	s_xor_b32 exec_lo, exec_lo, s36
	s_cbranch_execz .LBB54_11
; %bb.17:                               ;   in Loop: Header=BB54_13 Depth=3
	v_mov_b64_e32 v[16:17], s[24:25]
	ds_cmpstore_rtn_b64 v[16:17], v1, v[12:13], v[16:17]
	s_wait_dscnt 0x0
	v_cmp_ne_u64_e32 vcc_lo, s[24:25], v[16:17]
	s_or_not1_b32 s37, vcc_lo, exec_lo
	s_branch .LBB54_11
.LBB54_18:
	s_or_b32 exec_lo, exec_lo, s20
.LBB54_19:
	s_bfe_u32 s0, s3, 0x10008
	s_delay_alu instid0(SALU_CYCLE_1)
	s_cmp_eq_u32 s0, 0
	s_cbranch_scc1 .LBB54_32
; %bb.20:
	s_wait_kmcnt 0x0
	s_lshl_b64 s[0:1], s[12:13], 3
	v_mov_b32_e32 v1, 0
	s_add_nc_u64 s[0:1], s[6:7], s[0:1]
	s_mov_b32 s3, exec_lo
	s_load_b128 s[4:7], s[0:1], 0x0
	s_wait_xcnt 0x0
	s_mov_b32 s1, 0
	s_mov_b32 s0, s23
	s_delay_alu instid0(SALU_CYCLE_1) | instskip(SKIP_1) | instid1(VALU_DEP_1)
	v_sub_nc_u64_e64 v[4:5], v[0:1], s[0:1]
	s_wait_kmcnt 0x0
	v_add_nc_u64_e32 v[4:5], s[4:5], v[4:5]
	s_sub_nc_u64 s[4:5], s[6:7], s[0:1]
	s_delay_alu instid0(VALU_DEP_1) | instid1(SALU_CYCLE_1)
	v_cmpx_gt_i64_e64 s[4:5], v[4:5]
	s_cbranch_execz .LBB54_31
; %bb.21:
	s_mov_b32 s6, s1
	s_branch .LBB54_23
.LBB54_22:                              ;   in Loop: Header=BB54_23 Depth=1
	s_or_b32 exec_lo, exec_lo, s7
	v_add_nc_u64_e32 v[4:5], 0x100, v[4:5]
	s_delay_alu instid0(VALU_DEP_1) | instskip(SKIP_1) | instid1(SALU_CYCLE_1)
	v_cmp_le_i64_e32 vcc_lo, s[4:5], v[4:5]
	s_or_b32 s6, vcc_lo, s6
	s_and_not1_b32 exec_lo, exec_lo, s6
	s_cbranch_execz .LBB54_31
.LBB54_23:                              ; =>This Loop Header: Depth=1
                                        ;     Child Loop BB54_26 Depth 2
	v_lshl_add_u64 v[6:7], v[4:5], 3, s[8:9]
	s_mov_b32 s7, 0
                                        ; implicit-def: $sgpr14
	global_load_b64 v[6:7], v[6:7], off
	s_wait_loadcnt 0x0
	v_sub_nc_u64_e64 v[6:7], v[6:7], s[0:1]
	s_delay_alu instid0(VALU_DEP_1) | instskip(NEXT) | instid1(VALU_DEP_1)
	v_mul_lo_u32 v1, 0x89, v6
	v_and_b32_e32 v8, 0x1ff, v1
	s_branch .LBB54_26
.LBB54_24:                              ;   in Loop: Header=BB54_26 Depth=2
	s_or_b32 exec_lo, exec_lo, s16
	s_delay_alu instid0(SALU_CYCLE_1) | instskip(SKIP_1) | instid1(SALU_CYCLE_1)
	s_and_not1_b32 s14, s14, exec_lo
	s_and_b32 s16, s17, exec_lo
	s_or_b32 s14, s14, s16
.LBB54_25:                              ;   in Loop: Header=BB54_26 Depth=2
	s_or_b32 exec_lo, exec_lo, s15
	s_xor_b32 s15, s14, -1
	s_delay_alu instid0(SALU_CYCLE_1) | instskip(NEXT) | instid1(SALU_CYCLE_1)
	s_and_b32 s15, exec_lo, s15
	s_or_b32 s7, s15, s7
	s_delay_alu instid0(SALU_CYCLE_1)
	s_and_not1_b32 exec_lo, exec_lo, s7
	s_cbranch_execz .LBB54_22
.LBB54_26:                              ;   Parent Loop BB54_23 Depth=1
                                        ; =>  This Inner Loop Header: Depth=2
	s_delay_alu instid0(VALU_DEP_1)
	v_lshl_add_u32 v1, v8, 3, 0
	s_and_not1_b32 s14, s14, exec_lo
	s_mov_b32 s15, exec_lo
	ds_load_b64 v[10:11], v1
	s_wait_dscnt 0x0
	v_cmpx_ne_u64_e64 v[10:11], v[6:7]
	s_cbranch_execz .LBB54_25
; %bb.27:                               ;   in Loop: Header=BB54_26 Depth=2
	s_mov_b32 s16, exec_lo
	v_cmpx_ne_u64_e64 s[24:25], v[10:11]
	s_xor_b32 s16, exec_lo, s16
; %bb.28:                               ;   in Loop: Header=BB54_26 Depth=2
	v_add_nc_u32_e32 v1, 1, v8
	s_delay_alu instid0(VALU_DEP_1)
	v_and_b32_e32 v8, 0x1ff, v1
                                        ; implicit-def: $vgpr1
; %bb.29:                               ;   in Loop: Header=BB54_26 Depth=2
	s_or_saveexec_b32 s16, s16
	s_mov_b32 s17, -1
	s_xor_b32 exec_lo, exec_lo, s16
	s_cbranch_execz .LBB54_24
; %bb.30:                               ;   in Loop: Header=BB54_26 Depth=2
	v_mov_b64_e32 v[10:11], s[24:25]
	ds_cmpstore_rtn_b64 v[10:11], v1, v[6:7], v[10:11]
	s_wait_dscnt 0x0
	v_cmp_ne_u64_e32 vcc_lo, s[24:25], v[10:11]
	s_or_not1_b32 s17, vcc_lo, exec_lo
	s_branch .LBB54_24
.LBB54_31:
	s_or_b32 exec_lo, exec_lo, s3
.LBB54_32:
	s_barrier_signal -1
	s_barrier_wait -1
	s_and_saveexec_b32 s8, s2
	s_cbranch_execz .LBB54_53
; %bb.33:
	v_mbcnt_lo_u32_b32 v4, -1, 0
	v_mov_b32_e32 v3, 0
	v_lshl_add_u32 v1, v2, 3, 0
	v_mov_b64_e32 v[6:7], 0
	v_cmp_lt_u32_e64 s0, 31, v0
	v_xor_b32_e32 v2, 31, v4
	v_cmp_lt_u32_e64 s1, 63, v0
	v_cmp_lt_u32_e64 s2, 0x5f, v0
	;; [unrolled: 1-line block ×4, first 2 shown]
	v_lshrrev_b32_e64 v4, v2, -1
	v_cmp_lt_u32_e64 s5, 0xbf, v0
	v_cmp_lt_u32_e64 s6, 0xdf, v0
	s_mov_b32 s9, 0
	v_cmp_eq_u32_e32 vcc_lo, 0xff, v0
	s_branch .LBB54_35
.LBB54_34:                              ;   in Loop: Header=BB54_35 Depth=1
	s_or_b32 exec_lo, exec_lo, s7
	s_wait_dscnt 0x0
	s_barrier_signal -1
	s_barrier_wait -1
	ds_load_b64 v[8:9], v3 offset:4152
	v_add_co_u32 v15, s7, 0x100, v15
	s_xor_b32 s7, s7, -1
	v_add_nc_u32_e32 v18, 0x800, v18
	s_and_b32 s7, exec_lo, s7
	s_delay_alu instid0(SALU_CYCLE_1)
	s_or_b32 s9, s7, s9
	s_wait_dscnt 0x0
	v_add_nc_u64_e32 v[6:7], v[8:9], v[6:7]
	s_and_not1_b32 exec_lo, exec_lo, s9
	s_cbranch_execz .LBB54_53
.LBB54_35:                              ; =>This Inner Loop Header: Depth=1
	ds_load_b64 v[8:9], v18
	s_wait_dscnt 0x0
	s_barrier_signal -1
	s_barrier_wait -1
	v_cmp_gt_i64_e64 s7, s[24:25], v[8:9]
	s_bcnt1_i32_b32 s14, s7
	s_delay_alu instid0(SALU_CYCLE_1) | instskip(NEXT) | instid1(VALU_DEP_1)
	v_dual_mov_b32 v2, s14 :: v_dual_bitop2_b32 v5, s7, v4 bitop3:0x40
	v_bcnt_u32_b32 v10, v5, 0
	ds_store_b64 v1, v[2:3] offset:4096
	s_wait_dscnt 0x0
	s_barrier_signal -1
	s_barrier_wait -1
	s_and_saveexec_b32 s14, s0
	s_cbranch_execnz .LBB54_44
; %bb.36:                               ;   in Loop: Header=BB54_35 Depth=1
	s_or_b32 exec_lo, exec_lo, s14
	s_and_saveexec_b32 s14, s1
	s_cbranch_execnz .LBB54_45
.LBB54_37:                              ;   in Loop: Header=BB54_35 Depth=1
	s_or_b32 exec_lo, exec_lo, s14
	s_and_saveexec_b32 s14, s2
	s_cbranch_execnz .LBB54_46
.LBB54_38:                              ;   in Loop: Header=BB54_35 Depth=1
	s_or_b32 exec_lo, exec_lo, s14
	s_and_saveexec_b32 s14, s3
	s_cbranch_execnz .LBB54_47
.LBB54_39:                              ;   in Loop: Header=BB54_35 Depth=1
	s_or_b32 exec_lo, exec_lo, s14
	s_and_saveexec_b32 s14, s4
	s_cbranch_execnz .LBB54_48
.LBB54_40:                              ;   in Loop: Header=BB54_35 Depth=1
	s_or_b32 exec_lo, exec_lo, s14
	s_and_saveexec_b32 s14, s5
	s_cbranch_execnz .LBB54_49
.LBB54_41:                              ;   in Loop: Header=BB54_35 Depth=1
	s_or_b32 exec_lo, exec_lo, s14
	s_and_saveexec_b32 s14, s6
	s_cbranch_execnz .LBB54_50
.LBB54_42:                              ;   in Loop: Header=BB54_35 Depth=1
	s_or_b32 exec_lo, exec_lo, s14
	v_ashrrev_i32_e32 v11, 31, v10
	s_and_saveexec_b32 s14, s7
	s_cbranch_execnz .LBB54_51
.LBB54_43:                              ;   in Loop: Header=BB54_35 Depth=1
	s_or_b32 exec_lo, exec_lo, s14
	s_and_saveexec_b32 s7, vcc_lo
	s_cbranch_execz .LBB54_34
	s_branch .LBB54_52
.LBB54_44:                              ;   in Loop: Header=BB54_35 Depth=1
	ds_load_b32 v2, v3 offset:4096
	s_wait_dscnt 0x0
	v_add_nc_u32_e32 v10, v2, v10
	s_or_b32 exec_lo, exec_lo, s14
	s_and_saveexec_b32 s14, s1
	s_cbranch_execz .LBB54_37
.LBB54_45:                              ;   in Loop: Header=BB54_35 Depth=1
	ds_load_b32 v2, v3 offset:4104
	s_wait_dscnt 0x0
	v_add_nc_u32_e32 v10, v10, v2
	s_or_b32 exec_lo, exec_lo, s14
	s_and_saveexec_b32 s14, s2
	s_cbranch_execz .LBB54_38
.LBB54_46:                              ;   in Loop: Header=BB54_35 Depth=1
	ds_load_b32 v2, v3 offset:4112
	s_wait_dscnt 0x0
	v_add_nc_u32_e32 v10, v10, v2
	s_or_b32 exec_lo, exec_lo, s14
	s_and_saveexec_b32 s14, s3
	s_cbranch_execz .LBB54_39
.LBB54_47:                              ;   in Loop: Header=BB54_35 Depth=1
	ds_load_b32 v2, v3 offset:4120
	s_wait_dscnt 0x0
	v_add_nc_u32_e32 v10, v10, v2
	s_or_b32 exec_lo, exec_lo, s14
	s_and_saveexec_b32 s14, s4
	s_cbranch_execz .LBB54_40
.LBB54_48:                              ;   in Loop: Header=BB54_35 Depth=1
	ds_load_b32 v2, v3 offset:4128
	s_wait_dscnt 0x0
	v_add_nc_u32_e32 v10, v10, v2
	s_or_b32 exec_lo, exec_lo, s14
	s_and_saveexec_b32 s14, s5
	s_cbranch_execz .LBB54_41
.LBB54_49:                              ;   in Loop: Header=BB54_35 Depth=1
	ds_load_b32 v2, v3 offset:4136
	s_wait_dscnt 0x0
	v_add_nc_u32_e32 v10, v10, v2
	s_or_b32 exec_lo, exec_lo, s14
	s_and_saveexec_b32 s14, s6
	s_cbranch_execz .LBB54_42
.LBB54_50:                              ;   in Loop: Header=BB54_35 Depth=1
	ds_load_b32 v2, v3 offset:4144
	s_wait_dscnt 0x0
	v_add_nc_u32_e32 v10, v10, v2
	s_or_b32 exec_lo, exec_lo, s14
	s_delay_alu instid0(VALU_DEP_1)
	v_ashrrev_i32_e32 v11, 31, v10
	s_and_saveexec_b32 s14, s7
	s_cbranch_execz .LBB54_43
.LBB54_51:                              ;   in Loop: Header=BB54_35 Depth=1
	v_lshlrev_b32_e32 v2, 3, v6
	v_lshlrev_b32_e32 v5, 3, v10
	s_delay_alu instid0(VALU_DEP_2) | instskip(NEXT) | instid1(VALU_DEP_1)
	v_add_nc_u32_e32 v2, 0, v2
	v_add3_u32 v2, v2, v5, -8
	ds_store_b64 v2, v[8:9]
	s_or_b32 exec_lo, exec_lo, s14
	s_and_saveexec_b32 s7, vcc_lo
	s_cbranch_execz .LBB54_34
.LBB54_52:                              ;   in Loop: Header=BB54_35 Depth=1
	ds_store_b64 v3, v[10:11] offset:4152
	s_branch .LBB54_34
.LBB54_53:
	s_or_b32 exec_lo, exec_lo, s8
	s_wait_kmcnt 0x0
	s_lshl_b64 s[0:1], s[12:13], 3
	v_mov_b32_e32 v1, 0
	s_add_nc_u64 s[4:5], s[10:11], s[0:1]
	s_mov_b32 s6, exec_lo
	s_load_b128 s[0:3], s[4:5], 0x0
	s_wait_kmcnt 0x0
	s_sub_nc_u64 s[4:5], s[2:3], s[0:1]
	s_delay_alu instid0(SALU_CYCLE_1)
	v_cmpx_gt_i64_e64 s[4:5], v[0:1]
	s_cbranch_execz .LBB54_63
; %bb.54:
	s_sub_nc_u64 s[8:9], s[0:1], s[2:3]
	s_and_b64 s[6:7], s[4:5], 7
	v_cmp_lt_u64_e64 s10, s[8:9], -7
	s_and_b64 s[2:3], s[4:5], -8
	s_mov_b32 s23, 0
	s_cmp_lg_u64 s[6:7], 0
	s_sub_nc_u64 s[0:1], s[0:1], s[22:23]
	s_cselect_b32 s11, -1, 0
	s_mov_b32 s12, s23
	s_branch .LBB54_56
.LBB54_55:                              ;   in Loop: Header=BB54_56 Depth=1
	v_add_nc_u64_e32 v[0:1], 0x100, v[0:1]
	s_wait_dscnt 0x0
	v_add_nc_u64_e32 v[2:3], s[22:23], v[2:3]
	s_delay_alu instid0(VALU_DEP_3) | instskip(NEXT) | instid1(VALU_DEP_3)
	v_lshl_add_u64 v[4:5], v[4:5], 3, s[28:29]
	v_cmp_le_i64_e32 vcc_lo, s[4:5], v[0:1]
	global_store_b64 v[4:5], v[2:3], off
	s_or_b32 s12, vcc_lo, s12
	s_wait_xcnt 0x0
	s_and_not1_b32 exec_lo, exec_lo, s12
	s_cbranch_execz .LBB54_63
.LBB54_56:                              ; =>This Loop Header: Depth=1
                                        ;     Child Loop BB54_58 Depth 2
                                        ;     Child Loop BB54_62 Depth 2
	v_lshl_add_u32 v2, v0, 3, 0
	v_mov_b64_e32 v[4:5], s[0:1]
	s_and_not1_b32 vcc_lo, exec_lo, s10
	s_mov_b64 s[8:9], 0
	ds_load_b64 v[2:3], v2
	s_cbranch_vccnz .LBB54_60
; %bb.57:                               ;   in Loop: Header=BB54_56 Depth=1
	v_mov_b64_e32 v[4:5], s[0:1]
	s_mov_b32 s13, 0
.LBB54_58:                              ;   Parent Loop BB54_56 Depth=1
                                        ; =>  This Inner Loop Header: Depth=2
	s_delay_alu instid0(SALU_CYCLE_1)
	v_dual_mov_b32 v18, s13 :: v_dual_mov_b32 v15, s23
	v_mov_b32_e32 v17, s23
	s_add_nc_u64 s[8:9], s[8:9], 8
	s_add_co_i32 s13, s13, 64
	ds_load_2addr_b64 v[6:9], v18 offset1:1
	ds_load_2addr_b64 v[10:13], v18 offset0:2 offset1:3
	s_cmp_eq_u64 s[2:3], s[8:9]
	s_wait_dscnt 0x1
	v_cmp_gt_i64_e32 vcc_lo, v[2:3], v[6:7]
	v_cndmask_b32_e64 v14, 0, 1, vcc_lo
	v_cmp_gt_i64_e32 vcc_lo, v[2:3], v[8:9]
	s_delay_alu instid0(VALU_DEP_2) | instskip(SKIP_4) | instid1(VALU_DEP_2)
	v_add_nc_u64_e32 v[8:9], v[4:5], v[14:15]
	ds_load_2addr_b64 v[4:7], v18 offset0:4 offset1:5
	v_cndmask_b32_e64 v16, 0, 1, vcc_lo
	s_wait_dscnt 0x1
	v_cmp_gt_i64_e32 vcc_lo, v[2:3], v[10:11]
	v_add_nc_u64_e32 v[8:9], v[8:9], v[16:17]
	v_cndmask_b32_e64 v14, 0, 1, vcc_lo
	v_cmp_gt_i64_e32 vcc_lo, v[2:3], v[12:13]
	s_delay_alu instid0(VALU_DEP_2)
	v_add_nc_u64_e32 v[12:13], v[8:9], v[14:15]
	ds_load_2addr_b64 v[8:11], v18 offset0:6 offset1:7
	v_cndmask_b32_e64 v16, 0, 1, vcc_lo
	s_wait_dscnt 0x1
	v_cmp_gt_i64_e32 vcc_lo, v[2:3], v[4:5]
	v_mov_b32_e32 v5, s23
	s_delay_alu instid0(VALU_DEP_3) | instskip(SKIP_3) | instid1(VALU_DEP_3)
	v_add_nc_u64_e32 v[12:13], v[12:13], v[16:17]
	v_cndmask_b32_e64 v14, 0, 1, vcc_lo
	v_cmp_gt_i64_e32 vcc_lo, v[2:3], v[6:7]
	v_mov_b32_e32 v7, s23
	v_add_nc_u64_e32 v[12:13], v[12:13], v[14:15]
	v_cndmask_b32_e64 v4, 0, 1, vcc_lo
	s_wait_dscnt 0x0
	v_cmp_gt_i64_e32 vcc_lo, v[2:3], v[8:9]
	v_mov_b32_e32 v9, s23
	s_delay_alu instid0(VALU_DEP_3) | instskip(SKIP_2) | instid1(VALU_DEP_2)
	v_add_nc_u64_e32 v[4:5], v[12:13], v[4:5]
	v_cndmask_b32_e64 v6, 0, 1, vcc_lo
	v_cmp_gt_i64_e32 vcc_lo, v[2:3], v[10:11]
	v_add_nc_u64_e32 v[4:5], v[4:5], v[6:7]
	v_cndmask_b32_e64 v8, 0, 1, vcc_lo
	s_delay_alu instid0(VALU_DEP_1)
	v_add_nc_u64_e32 v[4:5], v[4:5], v[8:9]
	s_cbranch_scc0 .LBB54_58
; %bb.59:                               ;   in Loop: Header=BB54_56 Depth=1
	s_mov_b64 s[8:9], s[2:3]
.LBB54_60:                              ;   in Loop: Header=BB54_56 Depth=1
	s_and_not1_b32 vcc_lo, exec_lo, s11
	s_cbranch_vccnz .LBB54_55
; %bb.61:                               ;   in Loop: Header=BB54_56 Depth=1
	s_lshl_b32 s8, s8, 3
	s_delay_alu instid0(SALU_CYCLE_1)
	s_add_co_i32 s13, s8, 0
	s_mov_b64 s[8:9], s[6:7]
.LBB54_62:                              ;   Parent Loop BB54_56 Depth=1
                                        ; =>  This Inner Loop Header: Depth=2
	v_dual_mov_b32 v6, s13 :: v_dual_mov_b32 v9, s23
	s_add_nc_u64 s[8:9], s[8:9], -1
	s_add_co_i32 s13, s13, 8
	s_cmp_lg_u64 s[8:9], 0
	ds_load_b64 v[6:7], v6
	s_wait_dscnt 0x0
	v_cmp_gt_i64_e32 vcc_lo, v[2:3], v[6:7]
	v_cndmask_b32_e64 v8, 0, 1, vcc_lo
	s_delay_alu instid0(VALU_DEP_1)
	v_add_nc_u64_e32 v[4:5], v[4:5], v[8:9]
	s_cbranch_scc1 .LBB54_62
	s_branch .LBB54_55
.LBB54_63:
	s_endpgm
	.section	.rodata,"a",@progbits
	.p2align	6, 0x0
	.amdhsa_kernel _ZN9rocsparseL35csrgemm_symbolic_fill_block_per_rowILj256ELj32ELj512ELj137ELj32EllEEvT5_PKS1_S3_PKT4_S3_S6_S3_S6_S3_S6_PS1_21rocsparse_index_base_S8_S8_S8_bb
		.amdhsa_group_segment_fixed_size 0
		.amdhsa_private_segment_fixed_size 0
		.amdhsa_kernarg_size 108
		.amdhsa_user_sgpr_count 2
		.amdhsa_user_sgpr_dispatch_ptr 0
		.amdhsa_user_sgpr_queue_ptr 0
		.amdhsa_user_sgpr_kernarg_segment_ptr 1
		.amdhsa_user_sgpr_dispatch_id 0
		.amdhsa_user_sgpr_kernarg_preload_length 0
		.amdhsa_user_sgpr_kernarg_preload_offset 0
		.amdhsa_user_sgpr_private_segment_size 0
		.amdhsa_wavefront_size32 1
		.amdhsa_uses_dynamic_stack 0
		.amdhsa_enable_private_segment 0
		.amdhsa_system_sgpr_workgroup_id_x 1
		.amdhsa_system_sgpr_workgroup_id_y 0
		.amdhsa_system_sgpr_workgroup_id_z 0
		.amdhsa_system_sgpr_workgroup_info 0
		.amdhsa_system_vgpr_workitem_id 0
		.amdhsa_next_free_vgpr 19
		.amdhsa_next_free_sgpr 40
		.amdhsa_named_barrier_count 0
		.amdhsa_reserve_vcc 1
		.amdhsa_float_round_mode_32 0
		.amdhsa_float_round_mode_16_64 0
		.amdhsa_float_denorm_mode_32 3
		.amdhsa_float_denorm_mode_16_64 3
		.amdhsa_fp16_overflow 0
		.amdhsa_memory_ordered 1
		.amdhsa_forward_progress 1
		.amdhsa_inst_pref_size 19
		.amdhsa_round_robin_scheduling 0
		.amdhsa_exception_fp_ieee_invalid_op 0
		.amdhsa_exception_fp_denorm_src 0
		.amdhsa_exception_fp_ieee_div_zero 0
		.amdhsa_exception_fp_ieee_overflow 0
		.amdhsa_exception_fp_ieee_underflow 0
		.amdhsa_exception_fp_ieee_inexact 0
		.amdhsa_exception_int_div_zero 0
	.end_amdhsa_kernel
	.section	.text._ZN9rocsparseL35csrgemm_symbolic_fill_block_per_rowILj256ELj32ELj512ELj137ELj32EllEEvT5_PKS1_S3_PKT4_S3_S6_S3_S6_S3_S6_PS1_21rocsparse_index_base_S8_S8_S8_bb,"axG",@progbits,_ZN9rocsparseL35csrgemm_symbolic_fill_block_per_rowILj256ELj32ELj512ELj137ELj32EllEEvT5_PKS1_S3_PKT4_S3_S6_S3_S6_S3_S6_PS1_21rocsparse_index_base_S8_S8_S8_bb,comdat
.Lfunc_end54:
	.size	_ZN9rocsparseL35csrgemm_symbolic_fill_block_per_rowILj256ELj32ELj512ELj137ELj32EllEEvT5_PKS1_S3_PKT4_S3_S6_S3_S6_S3_S6_PS1_21rocsparse_index_base_S8_S8_S8_bb, .Lfunc_end54-_ZN9rocsparseL35csrgemm_symbolic_fill_block_per_rowILj256ELj32ELj512ELj137ELj32EllEEvT5_PKS1_S3_PKT4_S3_S6_S3_S6_S3_S6_PS1_21rocsparse_index_base_S8_S8_S8_bb
                                        ; -- End function
	.set _ZN9rocsparseL35csrgemm_symbolic_fill_block_per_rowILj256ELj32ELj512ELj137ELj32EllEEvT5_PKS1_S3_PKT4_S3_S6_S3_S6_S3_S6_PS1_21rocsparse_index_base_S8_S8_S8_bb.num_vgpr, 19
	.set _ZN9rocsparseL35csrgemm_symbolic_fill_block_per_rowILj256ELj32ELj512ELj137ELj32EllEEvT5_PKS1_S3_PKT4_S3_S6_S3_S6_S3_S6_PS1_21rocsparse_index_base_S8_S8_S8_bb.num_agpr, 0
	.set _ZN9rocsparseL35csrgemm_symbolic_fill_block_per_rowILj256ELj32ELj512ELj137ELj32EllEEvT5_PKS1_S3_PKT4_S3_S6_S3_S6_S3_S6_PS1_21rocsparse_index_base_S8_S8_S8_bb.numbered_sgpr, 40
	.set _ZN9rocsparseL35csrgemm_symbolic_fill_block_per_rowILj256ELj32ELj512ELj137ELj32EllEEvT5_PKS1_S3_PKT4_S3_S6_S3_S6_S3_S6_PS1_21rocsparse_index_base_S8_S8_S8_bb.num_named_barrier, 0
	.set _ZN9rocsparseL35csrgemm_symbolic_fill_block_per_rowILj256ELj32ELj512ELj137ELj32EllEEvT5_PKS1_S3_PKT4_S3_S6_S3_S6_S3_S6_PS1_21rocsparse_index_base_S8_S8_S8_bb.private_seg_size, 0
	.set _ZN9rocsparseL35csrgemm_symbolic_fill_block_per_rowILj256ELj32ELj512ELj137ELj32EllEEvT5_PKS1_S3_PKT4_S3_S6_S3_S6_S3_S6_PS1_21rocsparse_index_base_S8_S8_S8_bb.uses_vcc, 1
	.set _ZN9rocsparseL35csrgemm_symbolic_fill_block_per_rowILj256ELj32ELj512ELj137ELj32EllEEvT5_PKS1_S3_PKT4_S3_S6_S3_S6_S3_S6_PS1_21rocsparse_index_base_S8_S8_S8_bb.uses_flat_scratch, 0
	.set _ZN9rocsparseL35csrgemm_symbolic_fill_block_per_rowILj256ELj32ELj512ELj137ELj32EllEEvT5_PKS1_S3_PKT4_S3_S6_S3_S6_S3_S6_PS1_21rocsparse_index_base_S8_S8_S8_bb.has_dyn_sized_stack, 0
	.set _ZN9rocsparseL35csrgemm_symbolic_fill_block_per_rowILj256ELj32ELj512ELj137ELj32EllEEvT5_PKS1_S3_PKT4_S3_S6_S3_S6_S3_S6_PS1_21rocsparse_index_base_S8_S8_S8_bb.has_recursion, 0
	.set _ZN9rocsparseL35csrgemm_symbolic_fill_block_per_rowILj256ELj32ELj512ELj137ELj32EllEEvT5_PKS1_S3_PKT4_S3_S6_S3_S6_S3_S6_PS1_21rocsparse_index_base_S8_S8_S8_bb.has_indirect_call, 0
	.section	.AMDGPU.csdata,"",@progbits
; Kernel info:
; codeLenInByte = 2376
; TotalNumSgprs: 42
; NumVgprs: 19
; ScratchSize: 0
; MemoryBound: 0
; FloatMode: 240
; IeeeMode: 1
; LDSByteSize: 0 bytes/workgroup (compile time only)
; SGPRBlocks: 0
; VGPRBlocks: 1
; NumSGPRsForWavesPerEU: 42
; NumVGPRsForWavesPerEU: 19
; NamedBarCnt: 0
; Occupancy: 16
; WaveLimiterHint : 1
; COMPUTE_PGM_RSRC2:SCRATCH_EN: 0
; COMPUTE_PGM_RSRC2:USER_SGPR: 2
; COMPUTE_PGM_RSRC2:TRAP_HANDLER: 0
; COMPUTE_PGM_RSRC2:TGID_X_EN: 1
; COMPUTE_PGM_RSRC2:TGID_Y_EN: 0
; COMPUTE_PGM_RSRC2:TGID_Z_EN: 0
; COMPUTE_PGM_RSRC2:TIDIG_COMP_CNT: 0
	.section	.text._ZN9rocsparseL35csrgemm_symbolic_fill_block_per_rowILj256ELj32ELj512ELj137ELj64EllEEvT5_PKS1_S3_PKT4_S3_S6_S3_S6_S3_S6_PS1_21rocsparse_index_base_S8_S8_S8_bb,"axG",@progbits,_ZN9rocsparseL35csrgemm_symbolic_fill_block_per_rowILj256ELj32ELj512ELj137ELj64EllEEvT5_PKS1_S3_PKT4_S3_S6_S3_S6_S3_S6_PS1_21rocsparse_index_base_S8_S8_S8_bb,comdat
	.globl	_ZN9rocsparseL35csrgemm_symbolic_fill_block_per_rowILj256ELj32ELj512ELj137ELj64EllEEvT5_PKS1_S3_PKT4_S3_S6_S3_S6_S3_S6_PS1_21rocsparse_index_base_S8_S8_S8_bb ; -- Begin function _ZN9rocsparseL35csrgemm_symbolic_fill_block_per_rowILj256ELj32ELj512ELj137ELj64EllEEvT5_PKS1_S3_PKT4_S3_S6_S3_S6_S3_S6_PS1_21rocsparse_index_base_S8_S8_S8_bb
	.p2align	8
	.type	_ZN9rocsparseL35csrgemm_symbolic_fill_block_per_rowILj256ELj32ELj512ELj137ELj64EllEEvT5_PKS1_S3_PKT4_S3_S6_S3_S6_S3_S6_PS1_21rocsparse_index_base_S8_S8_S8_bb,@function
_ZN9rocsparseL35csrgemm_symbolic_fill_block_per_rowILj256ELj32ELj512ELj137ELj64EllEEvT5_PKS1_S3_PKT4_S3_S6_S3_S6_S3_S6_PS1_21rocsparse_index_base_S8_S8_S8_bb: ; @_ZN9rocsparseL35csrgemm_symbolic_fill_block_per_rowILj256ELj32ELj512ELj137ELj64EllEEvT5_PKS1_S3_PKT4_S3_S6_S3_S6_S3_S6_PS1_21rocsparse_index_base_S8_S8_S8_bb
; %bb.0:
	s_load_b128 s[24:27], s[0:1], 0x0
	v_cmp_gt_u32_e64 s2, 0x200, v0
	v_or_b32_e32 v13, 0xffffff00, v0
	v_lshl_add_u32 v16, v0, 3, 0
	s_and_saveexec_b32 s3, s2
	s_cbranch_execz .LBB55_3
; %bb.1:
	s_wait_kmcnt 0x0
	v_mov_b64_e32 v[2:3], s[24:25]
	v_or_b32_e32 v1, 0xffffff00, v0
	v_lshl_add_u32 v4, v0, 3, 0
	s_mov_b32 s4, 0
.LBB55_2:                               ; =>This Inner Loop Header: Depth=1
	s_delay_alu instid0(VALU_DEP_2) | instskip(SKIP_4) | instid1(SALU_CYCLE_1)
	v_add_co_u32 v1, s5, 0x100, v1
	s_xor_b32 s5, s5, -1
	ds_store_b64 v4, v[2:3]
	v_add_nc_u32_e32 v4, 0x800, v4
	s_and_b32 s5, exec_lo, s5
	s_or_b32 s4, s5, s4
	s_delay_alu instid0(SALU_CYCLE_1)
	s_and_not1_b32 exec_lo, exec_lo, s4
	s_cbranch_execnz .LBB55_2
.LBB55_3:
	s_or_b32 exec_lo, exec_lo, s3
	s_clause 0x3
	s_load_b64 s[28:29], s[0:1], 0x50
	s_load_b256 s[4:11], s[0:1], 0x30
	s_load_b256 s[12:19], s[0:1], 0x10
	s_load_b32 s3, s[0:1], 0x68
	s_wait_dscnt 0x0
	s_barrier_signal -1
	s_barrier_wait -1
	s_wait_kmcnt 0x0
	s_load_b64 s[20:21], s[26:27], 0x0
	s_wait_xcnt 0x0
	s_getreg_b32 s26, hwreg(HW_REG_IB_STS2, 6, 4)
	s_bitcmp1_b32 s3, 0
	s_cselect_b32 s30, -1, 0
	s_bfe_u32 s22, ttmp6, 0x4000c
	s_and_b32 s23, ttmp6, 15
	s_add_co_i32 s22, s22, 1
	s_wait_kmcnt 0x0
	s_lshl_b64 s[20:21], s[20:21], 3
	s_mul_i32 s22, ttmp9, s22
	s_delay_alu instid0(SALU_CYCLE_1)
	s_add_co_i32 s23, s23, s22
	s_cmp_eq_u32 s26, 0
	s_add_nc_u64 s[26:27], s[12:13], s[20:21]
	s_cselect_b32 s31, ttmp9, s23
	s_load_b128 s[20:23], s[0:1], 0x58
	s_load_b64 s[12:13], s[26:27], s31 offset:0x0 scale_offset
	s_and_b32 vcc_lo, exec_lo, s30
	s_wait_xcnt 0x0
	s_mov_b32 s1, 0
	s_cbranch_vccz .LBB55_19
; %bb.4:
	s_wait_kmcnt 0x0
	s_lshl_b64 s[26:27], s[12:13], 3
	v_dual_mov_b32 v5, 0 :: v_dual_lshrrev_b32 v4, 5, v0
	s_add_nc_u64 s[14:15], s[14:15], s[26:27]
	s_mov_b32 s0, s20
	s_load_b128 s[36:39], s[14:15], 0x0
	s_mov_b32 s20, exec_lo
	v_sub_nc_u64_e64 v[2:3], v[4:5], s[0:1]
	s_wait_kmcnt 0x0
	s_delay_alu instid0(VALU_DEP_1)
	v_add_nc_u64_e32 v[2:3], s[36:37], v[2:3]
	s_sub_nc_u64 s[14:15], s[38:39], s[0:1]
	s_delay_alu instid0(VALU_DEP_1) | instid1(SALU_CYCLE_1)
	v_cmpx_gt_i64_e64 s[14:15], v[2:3]
	s_cbranch_execz .LBB55_18
; %bb.5:
	v_and_b32_e32 v4, 31, v0
	s_mov_b32 s27, 0
	s_mov_b32 s26, s21
	;; [unrolled: 1-line block ×3, first 2 shown]
	s_delay_alu instid0(VALU_DEP_1)
	v_sub_nc_u64_e64 v[4:5], v[4:5], s[26:27]
	s_branch .LBB55_7
.LBB55_6:                               ;   in Loop: Header=BB55_7 Depth=1
	s_or_b32 exec_lo, exec_lo, s30
	v_add_nc_u64_e32 v[2:3], 8, v[2:3]
	s_delay_alu instid0(VALU_DEP_1) | instskip(SKIP_1) | instid1(SALU_CYCLE_1)
	v_cmp_le_i64_e32 vcc_lo, s[14:15], v[2:3]
	s_or_b32 s21, vcc_lo, s21
	s_and_not1_b32 exec_lo, exec_lo, s21
	s_cbranch_execz .LBB55_18
.LBB55_7:                               ; =>This Loop Header: Depth=1
                                        ;     Child Loop BB55_10 Depth 2
                                        ;       Child Loop BB55_13 Depth 3
	v_lshl_add_u64 v[6:7], v[2:3], 3, s[16:17]
	s_mov_b32 s30, exec_lo
	global_load_b64 v[6:7], v[6:7], off
	s_wait_loadcnt 0x0
	v_sub_nc_u64_e64 v[6:7], v[6:7], s[0:1]
	s_delay_alu instid0(VALU_DEP_1) | instskip(SKIP_4) | instid1(VALU_DEP_1)
	v_lshl_add_u64 v[6:7], v[6:7], 3, s[18:19]
	global_load_b128 v[8:11], v[6:7], off
	s_wait_loadcnt 0x0
	v_sub_nc_u64_e64 v[6:7], v[10:11], s[26:27]
	v_add_nc_u64_e32 v[8:9], v[8:9], v[4:5]
	v_cmpx_lt_i64_e64 v[8:9], v[6:7]
	s_cbranch_execz .LBB55_6
; %bb.8:                                ;   in Loop: Header=BB55_7 Depth=1
	s_mov_b32 s31, 0
	s_branch .LBB55_10
.LBB55_9:                               ;   in Loop: Header=BB55_10 Depth=2
	s_or_b32 exec_lo, exec_lo, s33
	v_add_nc_u64_e32 v[8:9], 32, v[8:9]
	s_delay_alu instid0(VALU_DEP_1) | instskip(SKIP_1) | instid1(SALU_CYCLE_1)
	v_cmp_ge_i64_e32 vcc_lo, v[8:9], v[6:7]
	s_or_b32 s31, vcc_lo, s31
	s_and_not1_b32 exec_lo, exec_lo, s31
	s_cbranch_execz .LBB55_6
.LBB55_10:                              ;   Parent Loop BB55_7 Depth=1
                                        ; =>  This Loop Header: Depth=2
                                        ;       Child Loop BB55_13 Depth 3
	v_lshl_add_u64 v[10:11], v[8:9], 3, s[4:5]
	s_mov_b32 s33, 0
                                        ; implicit-def: $sgpr34
	global_load_b64 v[10:11], v[10:11], off
	s_wait_loadcnt 0x0
	v_sub_nc_u64_e64 v[10:11], v[10:11], s[26:27]
	s_delay_alu instid0(VALU_DEP_1) | instskip(NEXT) | instid1(VALU_DEP_1)
	v_mul_lo_u32 v1, 0x89, v10
	v_and_b32_e32 v12, 0x1ff, v1
	s_branch .LBB55_13
.LBB55_11:                              ;   in Loop: Header=BB55_13 Depth=3
	s_or_b32 exec_lo, exec_lo, s36
	s_delay_alu instid0(SALU_CYCLE_1) | instskip(SKIP_1) | instid1(SALU_CYCLE_1)
	s_and_not1_b32 s34, s34, exec_lo
	s_and_b32 s36, s37, exec_lo
	s_or_b32 s34, s34, s36
.LBB55_12:                              ;   in Loop: Header=BB55_13 Depth=3
	s_or_b32 exec_lo, exec_lo, s35
	s_xor_b32 s35, s34, -1
	s_delay_alu instid0(SALU_CYCLE_1) | instskip(NEXT) | instid1(SALU_CYCLE_1)
	s_and_b32 s35, exec_lo, s35
	s_or_b32 s33, s35, s33
	s_delay_alu instid0(SALU_CYCLE_1)
	s_and_not1_b32 exec_lo, exec_lo, s33
	s_cbranch_execz .LBB55_9
.LBB55_13:                              ;   Parent Loop BB55_7 Depth=1
                                        ;     Parent Loop BB55_10 Depth=2
                                        ; =>    This Inner Loop Header: Depth=3
	s_delay_alu instid0(VALU_DEP_1)
	v_lshl_add_u32 v1, v12, 3, 0
	s_and_not1_b32 s34, s34, exec_lo
	s_mov_b32 s35, exec_lo
	ds_load_b64 v[14:15], v1
	s_wait_dscnt 0x0
	v_cmpx_ne_u64_e64 v[14:15], v[10:11]
	s_cbranch_execz .LBB55_12
; %bb.14:                               ;   in Loop: Header=BB55_13 Depth=3
	s_mov_b32 s36, exec_lo
	v_cmpx_ne_u64_e64 s[24:25], v[14:15]
	s_xor_b32 s36, exec_lo, s36
; %bb.15:                               ;   in Loop: Header=BB55_13 Depth=3
	v_add_nc_u32_e32 v1, 1, v12
	s_delay_alu instid0(VALU_DEP_1)
	v_and_b32_e32 v12, 0x1ff, v1
                                        ; implicit-def: $vgpr1
; %bb.16:                               ;   in Loop: Header=BB55_13 Depth=3
	s_or_saveexec_b32 s36, s36
	s_mov_b32 s37, -1
	s_xor_b32 exec_lo, exec_lo, s36
	s_cbranch_execz .LBB55_11
; %bb.17:                               ;   in Loop: Header=BB55_13 Depth=3
	v_mov_b64_e32 v[14:15], s[24:25]
	ds_cmpstore_rtn_b64 v[14:15], v1, v[10:11], v[14:15]
	s_wait_dscnt 0x0
	v_cmp_ne_u64_e32 vcc_lo, s[24:25], v[14:15]
	s_or_not1_b32 s37, vcc_lo, exec_lo
	s_branch .LBB55_11
.LBB55_18:
	s_or_b32 exec_lo, exec_lo, s20
.LBB55_19:
	s_bfe_u32 s0, s3, 0x10008
	s_delay_alu instid0(SALU_CYCLE_1)
	s_cmp_eq_u32 s0, 0
	s_cbranch_scc1 .LBB55_32
; %bb.20:
	s_wait_kmcnt 0x0
	s_lshl_b64 s[0:1], s[12:13], 3
	v_mov_b32_e32 v1, 0
	s_add_nc_u64 s[0:1], s[6:7], s[0:1]
	s_mov_b32 s3, exec_lo
	s_load_b128 s[4:7], s[0:1], 0x0
	s_wait_xcnt 0x0
	s_mov_b32 s1, 0
	s_mov_b32 s0, s23
	s_delay_alu instid0(SALU_CYCLE_1) | instskip(SKIP_1) | instid1(VALU_DEP_1)
	v_sub_nc_u64_e64 v[2:3], v[0:1], s[0:1]
	s_wait_kmcnt 0x0
	v_add_nc_u64_e32 v[2:3], s[4:5], v[2:3]
	s_sub_nc_u64 s[4:5], s[6:7], s[0:1]
	s_delay_alu instid0(VALU_DEP_1) | instid1(SALU_CYCLE_1)
	v_cmpx_gt_i64_e64 s[4:5], v[2:3]
	s_cbranch_execz .LBB55_31
; %bb.21:
	s_mov_b32 s6, s1
	s_branch .LBB55_23
.LBB55_22:                              ;   in Loop: Header=BB55_23 Depth=1
	s_or_b32 exec_lo, exec_lo, s7
	v_add_nc_u64_e32 v[2:3], 0x100, v[2:3]
	s_delay_alu instid0(VALU_DEP_1) | instskip(SKIP_1) | instid1(SALU_CYCLE_1)
	v_cmp_le_i64_e32 vcc_lo, s[4:5], v[2:3]
	s_or_b32 s6, vcc_lo, s6
	s_and_not1_b32 exec_lo, exec_lo, s6
	s_cbranch_execz .LBB55_31
.LBB55_23:                              ; =>This Loop Header: Depth=1
                                        ;     Child Loop BB55_26 Depth 2
	v_lshl_add_u64 v[4:5], v[2:3], 3, s[8:9]
	s_mov_b32 s7, 0
                                        ; implicit-def: $sgpr14
	global_load_b64 v[4:5], v[4:5], off
	s_wait_loadcnt 0x0
	v_sub_nc_u64_e64 v[4:5], v[4:5], s[0:1]
	s_delay_alu instid0(VALU_DEP_1) | instskip(NEXT) | instid1(VALU_DEP_1)
	v_mul_lo_u32 v1, 0x89, v4
	v_and_b32_e32 v6, 0x1ff, v1
	s_branch .LBB55_26
.LBB55_24:                              ;   in Loop: Header=BB55_26 Depth=2
	s_or_b32 exec_lo, exec_lo, s16
	s_delay_alu instid0(SALU_CYCLE_1) | instskip(SKIP_1) | instid1(SALU_CYCLE_1)
	s_and_not1_b32 s14, s14, exec_lo
	s_and_b32 s16, s17, exec_lo
	s_or_b32 s14, s14, s16
.LBB55_25:                              ;   in Loop: Header=BB55_26 Depth=2
	s_or_b32 exec_lo, exec_lo, s15
	s_xor_b32 s15, s14, -1
	s_delay_alu instid0(SALU_CYCLE_1) | instskip(NEXT) | instid1(SALU_CYCLE_1)
	s_and_b32 s15, exec_lo, s15
	s_or_b32 s7, s15, s7
	s_delay_alu instid0(SALU_CYCLE_1)
	s_and_not1_b32 exec_lo, exec_lo, s7
	s_cbranch_execz .LBB55_22
.LBB55_26:                              ;   Parent Loop BB55_23 Depth=1
                                        ; =>  This Inner Loop Header: Depth=2
	s_delay_alu instid0(VALU_DEP_1)
	v_lshl_add_u32 v1, v6, 3, 0
	s_and_not1_b32 s14, s14, exec_lo
	s_mov_b32 s15, exec_lo
	ds_load_b64 v[8:9], v1
	s_wait_dscnt 0x0
	v_cmpx_ne_u64_e64 v[8:9], v[4:5]
	s_cbranch_execz .LBB55_25
; %bb.27:                               ;   in Loop: Header=BB55_26 Depth=2
	s_mov_b32 s16, exec_lo
	v_cmpx_ne_u64_e64 s[24:25], v[8:9]
	s_xor_b32 s16, exec_lo, s16
; %bb.28:                               ;   in Loop: Header=BB55_26 Depth=2
	v_add_nc_u32_e32 v1, 1, v6
	s_delay_alu instid0(VALU_DEP_1)
	v_and_b32_e32 v6, 0x1ff, v1
                                        ; implicit-def: $vgpr1
; %bb.29:                               ;   in Loop: Header=BB55_26 Depth=2
	s_or_saveexec_b32 s16, s16
	s_mov_b32 s17, -1
	s_xor_b32 exec_lo, exec_lo, s16
	s_cbranch_execz .LBB55_24
; %bb.30:                               ;   in Loop: Header=BB55_26 Depth=2
	v_mov_b64_e32 v[8:9], s[24:25]
	ds_cmpstore_rtn_b64 v[8:9], v1, v[4:5], v[8:9]
	s_wait_dscnt 0x0
	v_cmp_ne_u64_e32 vcc_lo, s[24:25], v[8:9]
	s_or_not1_b32 s17, vcc_lo, exec_lo
	s_branch .LBB55_24
.LBB55_31:
	s_or_b32 exec_lo, exec_lo, s3
.LBB55_32:
	s_barrier_signal -1
	s_barrier_wait -1
	s_and_saveexec_b32 s4, s2
	s_cbranch_execz .LBB55_45
; %bb.33:
	v_mbcnt_lo_u32_b32 v1, -1, 0
	v_dual_mov_b32 v3, 0 :: v_dual_lshrrev_b32 v2, 3, v0
	v_mov_b64_e32 v[4:5], 0
	v_cmp_lt_u32_e64 s0, 63, v0
	s_delay_alu instid0(VALU_DEP_4) | instskip(NEXT) | instid1(VALU_DEP_4)
	v_xor_b32_e32 v1, 31, v1
	v_and_b32_e32 v2, 24, v2
	v_cmp_lt_u32_e64 s1, 0x7f, v0
	v_cmp_lt_u32_e64 s2, 0xbf, v0
	s_mov_b32 s5, 0
	v_lshrrev_b32_e64 v6, v1, -1
	v_add_nc_u32_e32 v1, 0, v2
	v_cmp_eq_u32_e32 vcc_lo, 0xff, v0
	s_branch .LBB55_35
.LBB55_34:                              ;   in Loop: Header=BB55_35 Depth=1
	s_or_b32 exec_lo, exec_lo, s3
	s_wait_dscnt 0x0
	s_barrier_signal -1
	s_barrier_wait -1
	ds_load_b64 v[8:9], v3 offset:4120
	v_add_co_u32 v13, s3, 0x100, v13
	s_xor_b32 s3, s3, -1
	v_add_nc_u32_e32 v16, 0x800, v16
	s_and_b32 s3, exec_lo, s3
	s_delay_alu instid0(SALU_CYCLE_1)
	s_or_b32 s5, s3, s5
	s_wait_dscnt 0x0
	v_add_nc_u64_e32 v[4:5], v[8:9], v[4:5]
	s_and_not1_b32 exec_lo, exec_lo, s5
	s_cbranch_execz .LBB55_45
.LBB55_35:                              ; =>This Inner Loop Header: Depth=1
	ds_load_b64 v[8:9], v16
	s_wait_dscnt 0x0
	s_barrier_signal -1
	s_barrier_wait -1
	v_cmp_gt_i64_e64 s3, s[24:25], v[8:9]
	s_bcnt1_i32_b32 s6, s3
	s_delay_alu instid0(SALU_CYCLE_1) | instskip(NEXT) | instid1(VALU_DEP_1)
	v_dual_mov_b32 v2, s6 :: v_dual_bitop2_b32 v7, s3, v6 bitop3:0x40
	v_bcnt_u32_b32 v10, v7, 0
	ds_store_b64 v1, v[2:3] offset:4096
	s_wait_dscnt 0x0
	s_barrier_signal -1
	s_barrier_wait -1
	s_and_saveexec_b32 s6, s0
	s_cbranch_execnz .LBB55_40
; %bb.36:                               ;   in Loop: Header=BB55_35 Depth=1
	s_or_b32 exec_lo, exec_lo, s6
	s_and_saveexec_b32 s6, s1
	s_cbranch_execnz .LBB55_41
.LBB55_37:                              ;   in Loop: Header=BB55_35 Depth=1
	s_or_b32 exec_lo, exec_lo, s6
	s_and_saveexec_b32 s6, s2
	s_cbranch_execnz .LBB55_42
.LBB55_38:                              ;   in Loop: Header=BB55_35 Depth=1
	s_or_b32 exec_lo, exec_lo, s6
	v_ashrrev_i32_e32 v11, 31, v10
	s_and_saveexec_b32 s6, s3
	s_cbranch_execnz .LBB55_43
.LBB55_39:                              ;   in Loop: Header=BB55_35 Depth=1
	s_or_b32 exec_lo, exec_lo, s6
	s_and_saveexec_b32 s3, vcc_lo
	s_cbranch_execz .LBB55_34
	s_branch .LBB55_44
.LBB55_40:                              ;   in Loop: Header=BB55_35 Depth=1
	ds_load_b32 v2, v3 offset:4096
	s_wait_dscnt 0x0
	v_add_nc_u32_e32 v10, v2, v10
	s_or_b32 exec_lo, exec_lo, s6
	s_and_saveexec_b32 s6, s1
	s_cbranch_execz .LBB55_37
.LBB55_41:                              ;   in Loop: Header=BB55_35 Depth=1
	ds_load_b32 v2, v3 offset:4104
	s_wait_dscnt 0x0
	v_add_nc_u32_e32 v10, v10, v2
	s_or_b32 exec_lo, exec_lo, s6
	s_and_saveexec_b32 s6, s2
	s_cbranch_execz .LBB55_38
.LBB55_42:                              ;   in Loop: Header=BB55_35 Depth=1
	ds_load_b32 v2, v3 offset:4112
	s_wait_dscnt 0x0
	v_add_nc_u32_e32 v10, v10, v2
	s_or_b32 exec_lo, exec_lo, s6
	s_delay_alu instid0(VALU_DEP_1)
	v_ashrrev_i32_e32 v11, 31, v10
	s_and_saveexec_b32 s6, s3
	s_cbranch_execz .LBB55_39
.LBB55_43:                              ;   in Loop: Header=BB55_35 Depth=1
	v_dual_lshlrev_b32 v2, 3, v4 :: v_dual_lshlrev_b32 v7, 3, v10
	s_delay_alu instid0(VALU_DEP_1) | instskip(NEXT) | instid1(VALU_DEP_1)
	v_add_nc_u32_e32 v2, 0, v2
	v_add3_u32 v2, v2, v7, -8
	ds_store_b64 v2, v[8:9]
	s_or_b32 exec_lo, exec_lo, s6
	s_and_saveexec_b32 s3, vcc_lo
	s_cbranch_execz .LBB55_34
.LBB55_44:                              ;   in Loop: Header=BB55_35 Depth=1
	ds_store_b64 v3, v[10:11] offset:4120
	s_branch .LBB55_34
.LBB55_45:
	s_or_b32 exec_lo, exec_lo, s4
	s_wait_kmcnt 0x0
	s_lshl_b64 s[0:1], s[12:13], 3
	v_mov_b32_e32 v1, 0
	s_add_nc_u64 s[4:5], s[10:11], s[0:1]
	s_mov_b32 s6, exec_lo
	s_load_b128 s[0:3], s[4:5], 0x0
	s_wait_kmcnt 0x0
	s_sub_nc_u64 s[4:5], s[2:3], s[0:1]
	s_delay_alu instid0(SALU_CYCLE_1)
	v_cmpx_gt_i64_e64 s[4:5], v[0:1]
	s_cbranch_execz .LBB55_55
; %bb.46:
	s_sub_nc_u64 s[8:9], s[0:1], s[2:3]
	s_and_b64 s[6:7], s[4:5], 7
	v_cmp_lt_u64_e64 s10, s[8:9], -7
	s_and_b64 s[2:3], s[4:5], -8
	s_mov_b32 s23, 0
	s_cmp_lg_u64 s[6:7], 0
	s_sub_nc_u64 s[0:1], s[0:1], s[22:23]
	s_cselect_b32 s11, -1, 0
	s_mov_b32 s12, s23
	s_branch .LBB55_48
.LBB55_47:                              ;   in Loop: Header=BB55_48 Depth=1
	v_add_nc_u64_e32 v[0:1], 0x100, v[0:1]
	s_wait_dscnt 0x0
	v_add_nc_u64_e32 v[2:3], s[22:23], v[2:3]
	s_delay_alu instid0(VALU_DEP_3) | instskip(NEXT) | instid1(VALU_DEP_3)
	v_lshl_add_u64 v[4:5], v[4:5], 3, s[28:29]
	v_cmp_le_i64_e32 vcc_lo, s[4:5], v[0:1]
	global_store_b64 v[4:5], v[2:3], off
	s_or_b32 s12, vcc_lo, s12
	s_wait_xcnt 0x0
	s_and_not1_b32 exec_lo, exec_lo, s12
	s_cbranch_execz .LBB55_55
.LBB55_48:                              ; =>This Loop Header: Depth=1
                                        ;     Child Loop BB55_50 Depth 2
                                        ;     Child Loop BB55_54 Depth 2
	v_lshl_add_u32 v2, v0, 3, 0
	v_mov_b64_e32 v[4:5], s[0:1]
	s_and_not1_b32 vcc_lo, exec_lo, s10
	s_mov_b64 s[8:9], 0
	ds_load_b64 v[2:3], v2
	s_cbranch_vccnz .LBB55_52
; %bb.49:                               ;   in Loop: Header=BB55_48 Depth=1
	v_mov_b64_e32 v[4:5], s[0:1]
	s_mov_b32 s13, 0
.LBB55_50:                              ;   Parent Loop BB55_48 Depth=1
                                        ; =>  This Inner Loop Header: Depth=2
	s_delay_alu instid0(SALU_CYCLE_1)
	v_dual_mov_b32 v18, s13 :: v_dual_mov_b32 v15, s23
	v_mov_b32_e32 v17, s23
	s_add_nc_u64 s[8:9], s[8:9], 8
	s_add_co_i32 s13, s13, 64
	ds_load_2addr_b64 v[6:9], v18 offset1:1
	ds_load_2addr_b64 v[10:13], v18 offset0:2 offset1:3
	s_cmp_eq_u64 s[2:3], s[8:9]
	s_wait_dscnt 0x1
	v_cmp_gt_i64_e32 vcc_lo, v[2:3], v[6:7]
	v_cndmask_b32_e64 v14, 0, 1, vcc_lo
	v_cmp_gt_i64_e32 vcc_lo, v[2:3], v[8:9]
	s_delay_alu instid0(VALU_DEP_2) | instskip(SKIP_4) | instid1(VALU_DEP_2)
	v_add_nc_u64_e32 v[8:9], v[4:5], v[14:15]
	ds_load_2addr_b64 v[4:7], v18 offset0:4 offset1:5
	v_cndmask_b32_e64 v16, 0, 1, vcc_lo
	s_wait_dscnt 0x1
	v_cmp_gt_i64_e32 vcc_lo, v[2:3], v[10:11]
	v_add_nc_u64_e32 v[8:9], v[8:9], v[16:17]
	v_cndmask_b32_e64 v14, 0, 1, vcc_lo
	v_cmp_gt_i64_e32 vcc_lo, v[2:3], v[12:13]
	s_delay_alu instid0(VALU_DEP_2)
	v_add_nc_u64_e32 v[12:13], v[8:9], v[14:15]
	ds_load_2addr_b64 v[8:11], v18 offset0:6 offset1:7
	v_cndmask_b32_e64 v16, 0, 1, vcc_lo
	s_wait_dscnt 0x1
	v_cmp_gt_i64_e32 vcc_lo, v[2:3], v[4:5]
	v_mov_b32_e32 v5, s23
	s_delay_alu instid0(VALU_DEP_3) | instskip(SKIP_3) | instid1(VALU_DEP_3)
	v_add_nc_u64_e32 v[12:13], v[12:13], v[16:17]
	v_cndmask_b32_e64 v14, 0, 1, vcc_lo
	v_cmp_gt_i64_e32 vcc_lo, v[2:3], v[6:7]
	v_mov_b32_e32 v7, s23
	v_add_nc_u64_e32 v[12:13], v[12:13], v[14:15]
	v_cndmask_b32_e64 v4, 0, 1, vcc_lo
	s_wait_dscnt 0x0
	v_cmp_gt_i64_e32 vcc_lo, v[2:3], v[8:9]
	v_mov_b32_e32 v9, s23
	s_delay_alu instid0(VALU_DEP_3) | instskip(SKIP_2) | instid1(VALU_DEP_2)
	v_add_nc_u64_e32 v[4:5], v[12:13], v[4:5]
	v_cndmask_b32_e64 v6, 0, 1, vcc_lo
	v_cmp_gt_i64_e32 vcc_lo, v[2:3], v[10:11]
	v_add_nc_u64_e32 v[4:5], v[4:5], v[6:7]
	v_cndmask_b32_e64 v8, 0, 1, vcc_lo
	s_delay_alu instid0(VALU_DEP_1)
	v_add_nc_u64_e32 v[4:5], v[4:5], v[8:9]
	s_cbranch_scc0 .LBB55_50
; %bb.51:                               ;   in Loop: Header=BB55_48 Depth=1
	s_mov_b64 s[8:9], s[2:3]
.LBB55_52:                              ;   in Loop: Header=BB55_48 Depth=1
	s_and_not1_b32 vcc_lo, exec_lo, s11
	s_cbranch_vccnz .LBB55_47
; %bb.53:                               ;   in Loop: Header=BB55_48 Depth=1
	s_lshl_b32 s8, s8, 3
	s_delay_alu instid0(SALU_CYCLE_1)
	s_add_co_i32 s13, s8, 0
	s_mov_b64 s[8:9], s[6:7]
.LBB55_54:                              ;   Parent Loop BB55_48 Depth=1
                                        ; =>  This Inner Loop Header: Depth=2
	v_dual_mov_b32 v6, s13 :: v_dual_mov_b32 v9, s23
	s_add_nc_u64 s[8:9], s[8:9], -1
	s_add_co_i32 s13, s13, 8
	s_cmp_lg_u64 s[8:9], 0
	ds_load_b64 v[6:7], v6
	s_wait_dscnt 0x0
	v_cmp_gt_i64_e32 vcc_lo, v[2:3], v[6:7]
	v_cndmask_b32_e64 v8, 0, 1, vcc_lo
	s_delay_alu instid0(VALU_DEP_1)
	v_add_nc_u64_e32 v[4:5], v[4:5], v[8:9]
	s_cbranch_scc1 .LBB55_54
	s_branch .LBB55_47
.LBB55_55:
	s_endpgm
	.section	.rodata,"a",@progbits
	.p2align	6, 0x0
	.amdhsa_kernel _ZN9rocsparseL35csrgemm_symbolic_fill_block_per_rowILj256ELj32ELj512ELj137ELj64EllEEvT5_PKS1_S3_PKT4_S3_S6_S3_S6_S3_S6_PS1_21rocsparse_index_base_S8_S8_S8_bb
		.amdhsa_group_segment_fixed_size 0
		.amdhsa_private_segment_fixed_size 0
		.amdhsa_kernarg_size 108
		.amdhsa_user_sgpr_count 2
		.amdhsa_user_sgpr_dispatch_ptr 0
		.amdhsa_user_sgpr_queue_ptr 0
		.amdhsa_user_sgpr_kernarg_segment_ptr 1
		.amdhsa_user_sgpr_dispatch_id 0
		.amdhsa_user_sgpr_kernarg_preload_length 0
		.amdhsa_user_sgpr_kernarg_preload_offset 0
		.amdhsa_user_sgpr_private_segment_size 0
		.amdhsa_wavefront_size32 1
		.amdhsa_uses_dynamic_stack 0
		.amdhsa_enable_private_segment 0
		.amdhsa_system_sgpr_workgroup_id_x 1
		.amdhsa_system_sgpr_workgroup_id_y 0
		.amdhsa_system_sgpr_workgroup_id_z 0
		.amdhsa_system_sgpr_workgroup_info 0
		.amdhsa_system_vgpr_workitem_id 0
		.amdhsa_next_free_vgpr 19
		.amdhsa_next_free_sgpr 40
		.amdhsa_named_barrier_count 0
		.amdhsa_reserve_vcc 1
		.amdhsa_float_round_mode_32 0
		.amdhsa_float_round_mode_16_64 0
		.amdhsa_float_denorm_mode_32 3
		.amdhsa_float_denorm_mode_16_64 3
		.amdhsa_fp16_overflow 0
		.amdhsa_memory_ordered 1
		.amdhsa_forward_progress 1
		.amdhsa_inst_pref_size 17
		.amdhsa_round_robin_scheduling 0
		.amdhsa_exception_fp_ieee_invalid_op 0
		.amdhsa_exception_fp_denorm_src 0
		.amdhsa_exception_fp_ieee_div_zero 0
		.amdhsa_exception_fp_ieee_overflow 0
		.amdhsa_exception_fp_ieee_underflow 0
		.amdhsa_exception_fp_ieee_inexact 0
		.amdhsa_exception_int_div_zero 0
	.end_amdhsa_kernel
	.section	.text._ZN9rocsparseL35csrgemm_symbolic_fill_block_per_rowILj256ELj32ELj512ELj137ELj64EllEEvT5_PKS1_S3_PKT4_S3_S6_S3_S6_S3_S6_PS1_21rocsparse_index_base_S8_S8_S8_bb,"axG",@progbits,_ZN9rocsparseL35csrgemm_symbolic_fill_block_per_rowILj256ELj32ELj512ELj137ELj64EllEEvT5_PKS1_S3_PKT4_S3_S6_S3_S6_S3_S6_PS1_21rocsparse_index_base_S8_S8_S8_bb,comdat
.Lfunc_end55:
	.size	_ZN9rocsparseL35csrgemm_symbolic_fill_block_per_rowILj256ELj32ELj512ELj137ELj64EllEEvT5_PKS1_S3_PKT4_S3_S6_S3_S6_S3_S6_PS1_21rocsparse_index_base_S8_S8_S8_bb, .Lfunc_end55-_ZN9rocsparseL35csrgemm_symbolic_fill_block_per_rowILj256ELj32ELj512ELj137ELj64EllEEvT5_PKS1_S3_PKT4_S3_S6_S3_S6_S3_S6_PS1_21rocsparse_index_base_S8_S8_S8_bb
                                        ; -- End function
	.set _ZN9rocsparseL35csrgemm_symbolic_fill_block_per_rowILj256ELj32ELj512ELj137ELj64EllEEvT5_PKS1_S3_PKT4_S3_S6_S3_S6_S3_S6_PS1_21rocsparse_index_base_S8_S8_S8_bb.num_vgpr, 19
	.set _ZN9rocsparseL35csrgemm_symbolic_fill_block_per_rowILj256ELj32ELj512ELj137ELj64EllEEvT5_PKS1_S3_PKT4_S3_S6_S3_S6_S3_S6_PS1_21rocsparse_index_base_S8_S8_S8_bb.num_agpr, 0
	.set _ZN9rocsparseL35csrgemm_symbolic_fill_block_per_rowILj256ELj32ELj512ELj137ELj64EllEEvT5_PKS1_S3_PKT4_S3_S6_S3_S6_S3_S6_PS1_21rocsparse_index_base_S8_S8_S8_bb.numbered_sgpr, 40
	.set _ZN9rocsparseL35csrgemm_symbolic_fill_block_per_rowILj256ELj32ELj512ELj137ELj64EllEEvT5_PKS1_S3_PKT4_S3_S6_S3_S6_S3_S6_PS1_21rocsparse_index_base_S8_S8_S8_bb.num_named_barrier, 0
	.set _ZN9rocsparseL35csrgemm_symbolic_fill_block_per_rowILj256ELj32ELj512ELj137ELj64EllEEvT5_PKS1_S3_PKT4_S3_S6_S3_S6_S3_S6_PS1_21rocsparse_index_base_S8_S8_S8_bb.private_seg_size, 0
	.set _ZN9rocsparseL35csrgemm_symbolic_fill_block_per_rowILj256ELj32ELj512ELj137ELj64EllEEvT5_PKS1_S3_PKT4_S3_S6_S3_S6_S3_S6_PS1_21rocsparse_index_base_S8_S8_S8_bb.uses_vcc, 1
	.set _ZN9rocsparseL35csrgemm_symbolic_fill_block_per_rowILj256ELj32ELj512ELj137ELj64EllEEvT5_PKS1_S3_PKT4_S3_S6_S3_S6_S3_S6_PS1_21rocsparse_index_base_S8_S8_S8_bb.uses_flat_scratch, 0
	.set _ZN9rocsparseL35csrgemm_symbolic_fill_block_per_rowILj256ELj32ELj512ELj137ELj64EllEEvT5_PKS1_S3_PKT4_S3_S6_S3_S6_S3_S6_PS1_21rocsparse_index_base_S8_S8_S8_bb.has_dyn_sized_stack, 0
	.set _ZN9rocsparseL35csrgemm_symbolic_fill_block_per_rowILj256ELj32ELj512ELj137ELj64EllEEvT5_PKS1_S3_PKT4_S3_S6_S3_S6_S3_S6_PS1_21rocsparse_index_base_S8_S8_S8_bb.has_recursion, 0
	.set _ZN9rocsparseL35csrgemm_symbolic_fill_block_per_rowILj256ELj32ELj512ELj137ELj64EllEEvT5_PKS1_S3_PKT4_S3_S6_S3_S6_S3_S6_PS1_21rocsparse_index_base_S8_S8_S8_bb.has_indirect_call, 0
	.section	.AMDGPU.csdata,"",@progbits
; Kernel info:
; codeLenInByte = 2176
; TotalNumSgprs: 42
; NumVgprs: 19
; ScratchSize: 0
; MemoryBound: 0
; FloatMode: 240
; IeeeMode: 1
; LDSByteSize: 0 bytes/workgroup (compile time only)
; SGPRBlocks: 0
; VGPRBlocks: 1
; NumSGPRsForWavesPerEU: 42
; NumVGPRsForWavesPerEU: 19
; NamedBarCnt: 0
; Occupancy: 16
; WaveLimiterHint : 1
; COMPUTE_PGM_RSRC2:SCRATCH_EN: 0
; COMPUTE_PGM_RSRC2:USER_SGPR: 2
; COMPUTE_PGM_RSRC2:TRAP_HANDLER: 0
; COMPUTE_PGM_RSRC2:TGID_X_EN: 1
; COMPUTE_PGM_RSRC2:TGID_Y_EN: 0
; COMPUTE_PGM_RSRC2:TGID_Z_EN: 0
; COMPUTE_PGM_RSRC2:TIDIG_COMP_CNT: 0
	.section	.text._ZN9rocsparseL35csrgemm_symbolic_fill_block_per_rowILj512ELj32ELj1024ELj137ELj32EllEEvT5_PKS1_S3_PKT4_S3_S6_S3_S6_S3_S6_PS1_21rocsparse_index_base_S8_S8_S8_bb,"axG",@progbits,_ZN9rocsparseL35csrgemm_symbolic_fill_block_per_rowILj512ELj32ELj1024ELj137ELj32EllEEvT5_PKS1_S3_PKT4_S3_S6_S3_S6_S3_S6_PS1_21rocsparse_index_base_S8_S8_S8_bb,comdat
	.globl	_ZN9rocsparseL35csrgemm_symbolic_fill_block_per_rowILj512ELj32ELj1024ELj137ELj32EllEEvT5_PKS1_S3_PKT4_S3_S6_S3_S6_S3_S6_PS1_21rocsparse_index_base_S8_S8_S8_bb ; -- Begin function _ZN9rocsparseL35csrgemm_symbolic_fill_block_per_rowILj512ELj32ELj1024ELj137ELj32EllEEvT5_PKS1_S3_PKT4_S3_S6_S3_S6_S3_S6_PS1_21rocsparse_index_base_S8_S8_S8_bb
	.p2align	8
	.type	_ZN9rocsparseL35csrgemm_symbolic_fill_block_per_rowILj512ELj32ELj1024ELj137ELj32EllEEvT5_PKS1_S3_PKT4_S3_S6_S3_S6_S3_S6_PS1_21rocsparse_index_base_S8_S8_S8_bb,@function
_ZN9rocsparseL35csrgemm_symbolic_fill_block_per_rowILj512ELj32ELj1024ELj137ELj32EllEEvT5_PKS1_S3_PKT4_S3_S6_S3_S6_S3_S6_PS1_21rocsparse_index_base_S8_S8_S8_bb: ; @_ZN9rocsparseL35csrgemm_symbolic_fill_block_per_rowILj512ELj32ELj1024ELj137ELj32EllEEvT5_PKS1_S3_PKT4_S3_S6_S3_S6_S3_S6_PS1_21rocsparse_index_base_S8_S8_S8_bb
; %bb.0:
	s_clause 0x3
	s_load_b256 s[16:23], s[0:1], 0x0
	s_load_b64 s[34:35], s[0:1], 0x50
	s_load_b128 s[28:31], s[0:1], 0x40
	s_load_b256 s[4:11], s[0:1], 0x20
	v_lshl_add_u32 v15, v0, 3, 0
	v_or_b32_e32 v18, 0xfffffe00, v0
	s_mov_b32 s2, 0
	s_delay_alu instid0(VALU_DEP_1)
	v_dual_mov_b32 v1, v15 :: v_dual_mov_b32 v4, v18
	s_wait_kmcnt 0x0
	v_mov_b64_e32 v[2:3], s[16:17]
.LBB56_1:                               ; =>This Inner Loop Header: Depth=1
	s_delay_alu instid0(VALU_DEP_2) | instskip(SKIP_4) | instid1(SALU_CYCLE_1)
	v_add_co_u32 v4, s3, 0x200, v4
	s_xor_b32 s3, s3, -1
	ds_store_b64 v1, v[2:3]
	v_add_nc_u32_e32 v1, 0x1000, v1
	s_and_b32 s3, exec_lo, s3
	s_or_b32 s2, s3, s2
	s_delay_alu instid0(SALU_CYCLE_1)
	s_and_not1_b32 exec_lo, exec_lo, s2
	s_cbranch_execnz .LBB56_1
; %bb.2:
	s_or_b32 exec_lo, exec_lo, s2
	s_load_b32 s14, s[0:1], 0x68
	s_wait_dscnt 0x0
	s_barrier_signal -1
	s_barrier_wait -1
	s_load_b64 s[2:3], s[18:19], 0x0
	s_wait_xcnt 0x0
	s_getreg_b32 s18, hwreg(HW_REG_IB_STS2, 6, 4)
	v_lshrrev_b32_e32 v2, 5, v0
	s_wait_kmcnt 0x0
	s_bitcmp1_b32 s14, 0
	s_cselect_b32 s12, -1, 0
	s_bfe_u32 s13, ttmp6, 0x4000c
	s_and_b32 s15, ttmp6, 15
	s_add_co_i32 s13, s13, 1
	s_lshl_b64 s[2:3], s[2:3], 3
	s_mul_i32 s13, ttmp9, s13
	s_add_nc_u64 s[2:3], s[20:21], s[2:3]
	s_add_co_i32 s15, s15, s13
	s_cmp_eq_u32 s18, 0
	s_cselect_b32 s13, ttmp9, s15
	s_load_b128 s[24:27], s[0:1], 0x58
	s_load_b64 s[18:19], s[2:3], s13 offset:0x0 scale_offset
	s_and_b32 vcc_lo, exec_lo, s12
	s_wait_xcnt 0x0
	s_mov_b32 s1, 0
	s_cbranch_vccz .LBB56_18
; %bb.3:
	s_wait_kmcnt 0x0
	s_lshl_b64 s[2:3], s[18:19], 3
	v_mov_b32_e32 v3, 0
	s_add_nc_u64 s[2:3], s[22:23], s[2:3]
	s_mov_b32 s0, s24
	s_load_b128 s[20:23], s[2:3], 0x0
	s_mov_b32 s15, exec_lo
	v_sub_nc_u64_e64 v[4:5], v[2:3], s[0:1]
	s_wait_kmcnt 0x0
	s_delay_alu instid0(VALU_DEP_1)
	v_add_nc_u64_e32 v[4:5], s[20:21], v[4:5]
	s_sub_nc_u64 s[2:3], s[22:23], s[0:1]
	s_delay_alu instid0(VALU_DEP_1) | instid1(SALU_CYCLE_1)
	v_cmpx_gt_i64_e64 s[2:3], v[4:5]
	s_cbranch_execz .LBB56_17
; %bb.4:
	v_dual_mov_b32 v7, v3 :: v_dual_bitop2_b32 v6, 31, v0 bitop3:0x40
	s_mov_b32 s13, 0
	s_mov_b32 s12, s25
	;; [unrolled: 1-line block ×3, first 2 shown]
	s_delay_alu instid0(VALU_DEP_1)
	v_sub_nc_u64_e64 v[6:7], v[6:7], s[12:13]
	s_branch .LBB56_6
.LBB56_5:                               ;   in Loop: Header=BB56_6 Depth=1
	s_or_b32 exec_lo, exec_lo, s21
	v_add_nc_u64_e32 v[4:5], 16, v[4:5]
	s_delay_alu instid0(VALU_DEP_1) | instskip(SKIP_1) | instid1(SALU_CYCLE_1)
	v_cmp_le_i64_e32 vcc_lo, s[2:3], v[4:5]
	s_or_b32 s20, vcc_lo, s20
	s_and_not1_b32 exec_lo, exec_lo, s20
	s_cbranch_execz .LBB56_17
.LBB56_6:                               ; =>This Loop Header: Depth=1
                                        ;     Child Loop BB56_9 Depth 2
                                        ;       Child Loop BB56_12 Depth 3
	v_lshl_add_u64 v[8:9], v[4:5], 3, s[4:5]
	s_mov_b32 s21, exec_lo
	global_load_b64 v[8:9], v[8:9], off
	s_wait_loadcnt 0x0
	v_sub_nc_u64_e64 v[8:9], v[8:9], s[0:1]
	s_delay_alu instid0(VALU_DEP_1) | instskip(SKIP_4) | instid1(VALU_DEP_1)
	v_lshl_add_u64 v[8:9], v[8:9], 3, s[6:7]
	global_load_b128 v[10:13], v[8:9], off
	s_wait_loadcnt 0x0
	v_sub_nc_u64_e64 v[8:9], v[12:13], s[12:13]
	v_add_nc_u64_e32 v[10:11], v[10:11], v[6:7]
	v_cmpx_lt_i64_e64 v[10:11], v[8:9]
	s_cbranch_execz .LBB56_5
; %bb.7:                                ;   in Loop: Header=BB56_6 Depth=1
	s_mov_b32 s22, 0
	s_branch .LBB56_9
.LBB56_8:                               ;   in Loop: Header=BB56_9 Depth=2
	s_or_b32 exec_lo, exec_lo, s23
	v_add_nc_u64_e32 v[10:11], 32, v[10:11]
	s_delay_alu instid0(VALU_DEP_1) | instskip(SKIP_1) | instid1(SALU_CYCLE_1)
	v_cmp_ge_i64_e32 vcc_lo, v[10:11], v[8:9]
	s_or_b32 s22, vcc_lo, s22
	s_and_not1_b32 exec_lo, exec_lo, s22
	s_cbranch_execz .LBB56_5
.LBB56_9:                               ;   Parent Loop BB56_6 Depth=1
                                        ; =>  This Loop Header: Depth=2
                                        ;       Child Loop BB56_12 Depth 3
	v_lshl_add_u64 v[12:13], v[10:11], 3, s[8:9]
	s_mov_b32 s23, 0
                                        ; implicit-def: $sgpr24
	global_load_b64 v[12:13], v[12:13], off
	s_wait_loadcnt 0x0
	v_sub_nc_u64_e64 v[12:13], v[12:13], s[12:13]
	s_delay_alu instid0(VALU_DEP_1) | instskip(NEXT) | instid1(VALU_DEP_1)
	v_mul_lo_u32 v1, 0x89, v12
	v_and_b32_e32 v14, 0x3ff, v1
	s_branch .LBB56_12
.LBB56_10:                              ;   in Loop: Header=BB56_12 Depth=3
	s_or_b32 exec_lo, exec_lo, s33
	s_delay_alu instid0(SALU_CYCLE_1) | instskip(SKIP_1) | instid1(SALU_CYCLE_1)
	s_and_not1_b32 s24, s24, exec_lo
	s_and_b32 s33, s36, exec_lo
	s_or_b32 s24, s24, s33
.LBB56_11:                              ;   in Loop: Header=BB56_12 Depth=3
	s_or_b32 exec_lo, exec_lo, s25
	s_xor_b32 s25, s24, -1
	s_delay_alu instid0(SALU_CYCLE_1) | instskip(NEXT) | instid1(SALU_CYCLE_1)
	s_and_b32 s25, exec_lo, s25
	s_or_b32 s23, s25, s23
	s_delay_alu instid0(SALU_CYCLE_1)
	s_and_not1_b32 exec_lo, exec_lo, s23
	s_cbranch_execz .LBB56_8
.LBB56_12:                              ;   Parent Loop BB56_6 Depth=1
                                        ;     Parent Loop BB56_9 Depth=2
                                        ; =>    This Inner Loop Header: Depth=3
	s_delay_alu instid0(VALU_DEP_1)
	v_lshl_add_u32 v1, v14, 3, 0
	s_and_not1_b32 s24, s24, exec_lo
	s_mov_b32 s25, exec_lo
	ds_load_b64 v[16:17], v1
	s_wait_dscnt 0x0
	v_cmpx_ne_u64_e64 v[16:17], v[12:13]
	s_cbranch_execz .LBB56_11
; %bb.13:                               ;   in Loop: Header=BB56_12 Depth=3
	s_mov_b32 s33, exec_lo
	v_cmpx_ne_u64_e64 s[16:17], v[16:17]
	s_xor_b32 s33, exec_lo, s33
; %bb.14:                               ;   in Loop: Header=BB56_12 Depth=3
	v_add_nc_u32_e32 v1, 1, v14
	s_delay_alu instid0(VALU_DEP_1)
	v_and_b32_e32 v14, 0x3ff, v1
                                        ; implicit-def: $vgpr1
; %bb.15:                               ;   in Loop: Header=BB56_12 Depth=3
	s_or_saveexec_b32 s33, s33
	s_mov_b32 s36, -1
	s_xor_b32 exec_lo, exec_lo, s33
	s_cbranch_execz .LBB56_10
; %bb.16:                               ;   in Loop: Header=BB56_12 Depth=3
	v_mov_b64_e32 v[16:17], s[16:17]
	ds_cmpstore_rtn_b64 v[16:17], v1, v[12:13], v[16:17]
	s_wait_dscnt 0x0
	v_cmp_ne_u64_e32 vcc_lo, s[16:17], v[16:17]
	s_or_not1_b32 s36, vcc_lo, exec_lo
	s_branch .LBB56_10
.LBB56_17:
	s_or_b32 exec_lo, exec_lo, s15
.LBB56_18:
	s_bfe_u32 s0, s14, 0x10008
	s_delay_alu instid0(SALU_CYCLE_1)
	s_cmp_eq_u32 s0, 0
	s_cbranch_scc1 .LBB56_31
; %bb.19:
	s_wait_kmcnt 0x0
	s_lshl_b64 s[0:1], s[18:19], 3
	v_mov_b32_e32 v1, 0
	s_add_nc_u64 s[0:1], s[10:11], s[0:1]
	s_load_b128 s[4:7], s[0:1], 0x0
	s_wait_xcnt 0x0
	s_mov_b32 s1, 0
	s_mov_b32 s0, s27
	s_delay_alu instid0(SALU_CYCLE_1) | instskip(SKIP_1) | instid1(VALU_DEP_1)
	v_sub_nc_u64_e64 v[4:5], v[0:1], s[0:1]
	s_wait_kmcnt 0x0
	v_add_nc_u64_e32 v[4:5], s[4:5], v[4:5]
	s_sub_nc_u64 s[2:3], s[6:7], s[0:1]
	s_mov_b32 s4, exec_lo
	s_delay_alu instid0(VALU_DEP_1)
	v_cmpx_gt_i64_e64 s[2:3], v[4:5]
	s_cbranch_execz .LBB56_30
; %bb.20:
	s_mov_b32 s5, s1
	s_branch .LBB56_22
.LBB56_21:                              ;   in Loop: Header=BB56_22 Depth=1
	s_or_b32 exec_lo, exec_lo, s6
	v_add_nc_u64_e32 v[4:5], 0x200, v[4:5]
	s_delay_alu instid0(VALU_DEP_1) | instskip(SKIP_1) | instid1(SALU_CYCLE_1)
	v_cmp_le_i64_e32 vcc_lo, s[2:3], v[4:5]
	s_or_b32 s5, vcc_lo, s5
	s_and_not1_b32 exec_lo, exec_lo, s5
	s_cbranch_execz .LBB56_30
.LBB56_22:                              ; =>This Loop Header: Depth=1
                                        ;     Child Loop BB56_25 Depth 2
	v_lshl_add_u64 v[6:7], v[4:5], 3, s[28:29]
	s_mov_b32 s6, 0
                                        ; implicit-def: $sgpr7
	global_load_b64 v[6:7], v[6:7], off
	s_wait_loadcnt 0x0
	v_sub_nc_u64_e64 v[6:7], v[6:7], s[0:1]
	s_delay_alu instid0(VALU_DEP_1) | instskip(NEXT) | instid1(VALU_DEP_1)
	v_mul_lo_u32 v1, 0x89, v6
	v_and_b32_e32 v8, 0x3ff, v1
	s_branch .LBB56_25
.LBB56_23:                              ;   in Loop: Header=BB56_25 Depth=2
	s_or_b32 exec_lo, exec_lo, s9
	s_delay_alu instid0(SALU_CYCLE_1) | instskip(SKIP_1) | instid1(SALU_CYCLE_1)
	s_and_not1_b32 s7, s7, exec_lo
	s_and_b32 s9, s10, exec_lo
	s_or_b32 s7, s7, s9
.LBB56_24:                              ;   in Loop: Header=BB56_25 Depth=2
	s_or_b32 exec_lo, exec_lo, s8
	s_xor_b32 s8, s7, -1
	s_delay_alu instid0(SALU_CYCLE_1) | instskip(NEXT) | instid1(SALU_CYCLE_1)
	s_and_b32 s8, exec_lo, s8
	s_or_b32 s6, s8, s6
	s_delay_alu instid0(SALU_CYCLE_1)
	s_and_not1_b32 exec_lo, exec_lo, s6
	s_cbranch_execz .LBB56_21
.LBB56_25:                              ;   Parent Loop BB56_22 Depth=1
                                        ; =>  This Inner Loop Header: Depth=2
	s_delay_alu instid0(VALU_DEP_1)
	v_lshl_add_u32 v1, v8, 3, 0
	s_and_not1_b32 s7, s7, exec_lo
	s_mov_b32 s8, exec_lo
	ds_load_b64 v[10:11], v1
	s_wait_dscnt 0x0
	v_cmpx_ne_u64_e64 v[10:11], v[6:7]
	s_cbranch_execz .LBB56_24
; %bb.26:                               ;   in Loop: Header=BB56_25 Depth=2
	s_mov_b32 s9, exec_lo
	v_cmpx_ne_u64_e64 s[16:17], v[10:11]
	s_xor_b32 s9, exec_lo, s9
; %bb.27:                               ;   in Loop: Header=BB56_25 Depth=2
	v_add_nc_u32_e32 v1, 1, v8
	s_delay_alu instid0(VALU_DEP_1)
	v_and_b32_e32 v8, 0x3ff, v1
                                        ; implicit-def: $vgpr1
; %bb.28:                               ;   in Loop: Header=BB56_25 Depth=2
	s_or_saveexec_b32 s9, s9
	s_mov_b32 s10, -1
	s_xor_b32 exec_lo, exec_lo, s9
	s_cbranch_execz .LBB56_23
; %bb.29:                               ;   in Loop: Header=BB56_25 Depth=2
	v_mov_b64_e32 v[10:11], s[16:17]
	ds_cmpstore_rtn_b64 v[10:11], v1, v[6:7], v[10:11]
	s_wait_dscnt 0x0
	v_cmp_ne_u64_e32 vcc_lo, s[16:17], v[10:11]
	s_or_not1_b32 s10, vcc_lo, exec_lo
	s_branch .LBB56_23
.LBB56_30:
	s_or_b32 exec_lo, exec_lo, s4
.LBB56_31:
	v_mbcnt_lo_u32_b32 v4, -1, 0
	v_mov_b32_e32 v3, 0
	v_lshl_add_u32 v1, v2, 3, 0
	v_mov_b64_e32 v[6:7], 0
	v_cmp_lt_u32_e64 s0, 31, v0
	v_xor_b32_e32 v2, 31, v4
	v_cmp_lt_u32_e64 s1, 63, v0
	v_cmp_lt_u32_e64 s2, 0x5f, v0
	;; [unrolled: 1-line block ×4, first 2 shown]
	v_lshrrev_b32_e64 v4, v2, -1
	v_cmp_lt_u32_e64 s5, 0xbf, v0
	v_cmp_lt_u32_e64 s6, 0xdf, v0
	;; [unrolled: 1-line block ×10, first 2 shown]
	s_mov_b32 s20, 0
	v_cmp_eq_u32_e32 vcc_lo, 0x1ff, v0
	s_barrier_signal -1
	s_barrier_wait -1
	s_branch .LBB56_33
.LBB56_32:                              ;   in Loop: Header=BB56_33 Depth=1
	s_or_b32 exec_lo, exec_lo, s15
	s_wait_dscnt 0x0
	s_barrier_signal -1
	s_barrier_wait -1
	ds_load_b64 v[8:9], v3 offset:8312
	v_add_co_u32 v18, s15, 0x200, v18
	s_xor_b32 s15, s15, -1
	v_add_nc_u32_e32 v15, 0x1000, v15
	s_and_b32 s15, exec_lo, s15
	s_delay_alu instid0(SALU_CYCLE_1)
	s_or_b32 s20, s15, s20
	s_wait_dscnt 0x0
	v_add_nc_u64_e32 v[6:7], v[8:9], v[6:7]
	s_and_not1_b32 exec_lo, exec_lo, s20
	s_cbranch_execz .LBB56_67
.LBB56_33:                              ; =>This Inner Loop Header: Depth=1
	ds_load_b64 v[8:9], v15
	s_wait_dscnt 0x0
	s_barrier_signal -1
	s_barrier_wait -1
	v_cmp_gt_i64_e64 s15, s[16:17], v[8:9]
	s_bcnt1_i32_b32 s21, s15
	s_delay_alu instid0(SALU_CYCLE_1) | instskip(NEXT) | instid1(VALU_DEP_1)
	v_dual_mov_b32 v2, s21 :: v_dual_bitop2_b32 v5, s15, v4 bitop3:0x40
	v_bcnt_u32_b32 v10, v5, 0
	ds_store_b64 v1, v[2:3] offset:8192
	s_wait_dscnt 0x0
	s_barrier_signal -1
	s_barrier_wait -1
	s_and_saveexec_b32 s21, s0
	s_cbranch_execnz .LBB56_50
; %bb.34:                               ;   in Loop: Header=BB56_33 Depth=1
	s_or_b32 exec_lo, exec_lo, s21
	s_and_saveexec_b32 s21, s1
	s_cbranch_execnz .LBB56_51
.LBB56_35:                              ;   in Loop: Header=BB56_33 Depth=1
	s_or_b32 exec_lo, exec_lo, s21
	s_and_saveexec_b32 s21, s2
	s_cbranch_execnz .LBB56_52
.LBB56_36:                              ;   in Loop: Header=BB56_33 Depth=1
	s_or_b32 exec_lo, exec_lo, s21
	s_and_saveexec_b32 s21, s3
	s_cbranch_execnz .LBB56_53
.LBB56_37:                              ;   in Loop: Header=BB56_33 Depth=1
	s_or_b32 exec_lo, exec_lo, s21
	s_and_saveexec_b32 s21, s4
	s_cbranch_execnz .LBB56_54
.LBB56_38:                              ;   in Loop: Header=BB56_33 Depth=1
	s_or_b32 exec_lo, exec_lo, s21
	s_and_saveexec_b32 s21, s5
	s_cbranch_execnz .LBB56_55
.LBB56_39:                              ;   in Loop: Header=BB56_33 Depth=1
	s_or_b32 exec_lo, exec_lo, s21
	s_and_saveexec_b32 s21, s6
	s_cbranch_execnz .LBB56_56
.LBB56_40:                              ;   in Loop: Header=BB56_33 Depth=1
	s_or_b32 exec_lo, exec_lo, s21
	s_and_saveexec_b32 s21, s7
	s_cbranch_execnz .LBB56_57
.LBB56_41:                              ;   in Loop: Header=BB56_33 Depth=1
	s_or_b32 exec_lo, exec_lo, s21
	s_and_saveexec_b32 s21, s8
	s_cbranch_execnz .LBB56_58
.LBB56_42:                              ;   in Loop: Header=BB56_33 Depth=1
	s_or_b32 exec_lo, exec_lo, s21
	s_and_saveexec_b32 s21, s9
	s_cbranch_execnz .LBB56_59
.LBB56_43:                              ;   in Loop: Header=BB56_33 Depth=1
	s_or_b32 exec_lo, exec_lo, s21
	s_and_saveexec_b32 s21, s10
	s_cbranch_execnz .LBB56_60
.LBB56_44:                              ;   in Loop: Header=BB56_33 Depth=1
	s_or_b32 exec_lo, exec_lo, s21
	s_and_saveexec_b32 s21, s11
	s_cbranch_execnz .LBB56_61
.LBB56_45:                              ;   in Loop: Header=BB56_33 Depth=1
	s_or_b32 exec_lo, exec_lo, s21
	s_and_saveexec_b32 s21, s12
	s_cbranch_execnz .LBB56_62
.LBB56_46:                              ;   in Loop: Header=BB56_33 Depth=1
	s_or_b32 exec_lo, exec_lo, s21
	s_and_saveexec_b32 s21, s13
	s_cbranch_execnz .LBB56_63
.LBB56_47:                              ;   in Loop: Header=BB56_33 Depth=1
	s_or_b32 exec_lo, exec_lo, s21
	s_and_saveexec_b32 s21, s14
	s_cbranch_execnz .LBB56_64
.LBB56_48:                              ;   in Loop: Header=BB56_33 Depth=1
	s_or_b32 exec_lo, exec_lo, s21
	v_ashrrev_i32_e32 v11, 31, v10
	s_and_saveexec_b32 s21, s15
	s_cbranch_execnz .LBB56_65
.LBB56_49:                              ;   in Loop: Header=BB56_33 Depth=1
	s_or_b32 exec_lo, exec_lo, s21
	s_and_saveexec_b32 s15, vcc_lo
	s_cbranch_execz .LBB56_32
	s_branch .LBB56_66
.LBB56_50:                              ;   in Loop: Header=BB56_33 Depth=1
	ds_load_b32 v2, v3 offset:8192
	s_wait_dscnt 0x0
	v_add_nc_u32_e32 v10, v2, v10
	s_or_b32 exec_lo, exec_lo, s21
	s_and_saveexec_b32 s21, s1
	s_cbranch_execz .LBB56_35
.LBB56_51:                              ;   in Loop: Header=BB56_33 Depth=1
	ds_load_b32 v2, v3 offset:8200
	s_wait_dscnt 0x0
	v_add_nc_u32_e32 v10, v10, v2
	s_or_b32 exec_lo, exec_lo, s21
	s_and_saveexec_b32 s21, s2
	s_cbranch_execz .LBB56_36
.LBB56_52:                              ;   in Loop: Header=BB56_33 Depth=1
	ds_load_b32 v2, v3 offset:8208
	s_wait_dscnt 0x0
	v_add_nc_u32_e32 v10, v10, v2
	s_or_b32 exec_lo, exec_lo, s21
	s_and_saveexec_b32 s21, s3
	s_cbranch_execz .LBB56_37
.LBB56_53:                              ;   in Loop: Header=BB56_33 Depth=1
	ds_load_b32 v2, v3 offset:8216
	s_wait_dscnt 0x0
	v_add_nc_u32_e32 v10, v10, v2
	s_or_b32 exec_lo, exec_lo, s21
	s_and_saveexec_b32 s21, s4
	s_cbranch_execz .LBB56_38
.LBB56_54:                              ;   in Loop: Header=BB56_33 Depth=1
	ds_load_b32 v2, v3 offset:8224
	s_wait_dscnt 0x0
	v_add_nc_u32_e32 v10, v10, v2
	s_or_b32 exec_lo, exec_lo, s21
	s_and_saveexec_b32 s21, s5
	s_cbranch_execz .LBB56_39
.LBB56_55:                              ;   in Loop: Header=BB56_33 Depth=1
	ds_load_b32 v2, v3 offset:8232
	s_wait_dscnt 0x0
	v_add_nc_u32_e32 v10, v10, v2
	s_or_b32 exec_lo, exec_lo, s21
	s_and_saveexec_b32 s21, s6
	s_cbranch_execz .LBB56_40
.LBB56_56:                              ;   in Loop: Header=BB56_33 Depth=1
	ds_load_b32 v2, v3 offset:8240
	s_wait_dscnt 0x0
	v_add_nc_u32_e32 v10, v10, v2
	s_or_b32 exec_lo, exec_lo, s21
	s_and_saveexec_b32 s21, s7
	s_cbranch_execz .LBB56_41
.LBB56_57:                              ;   in Loop: Header=BB56_33 Depth=1
	ds_load_b32 v2, v3 offset:8248
	s_wait_dscnt 0x0
	v_add_nc_u32_e32 v10, v10, v2
	s_or_b32 exec_lo, exec_lo, s21
	s_and_saveexec_b32 s21, s8
	s_cbranch_execz .LBB56_42
.LBB56_58:                              ;   in Loop: Header=BB56_33 Depth=1
	ds_load_b32 v2, v3 offset:8256
	s_wait_dscnt 0x0
	v_add_nc_u32_e32 v10, v10, v2
	s_or_b32 exec_lo, exec_lo, s21
	s_and_saveexec_b32 s21, s9
	s_cbranch_execz .LBB56_43
.LBB56_59:                              ;   in Loop: Header=BB56_33 Depth=1
	ds_load_b32 v2, v3 offset:8264
	s_wait_dscnt 0x0
	v_add_nc_u32_e32 v10, v10, v2
	s_or_b32 exec_lo, exec_lo, s21
	s_and_saveexec_b32 s21, s10
	s_cbranch_execz .LBB56_44
.LBB56_60:                              ;   in Loop: Header=BB56_33 Depth=1
	ds_load_b32 v2, v3 offset:8272
	s_wait_dscnt 0x0
	v_add_nc_u32_e32 v10, v10, v2
	s_or_b32 exec_lo, exec_lo, s21
	s_and_saveexec_b32 s21, s11
	s_cbranch_execz .LBB56_45
.LBB56_61:                              ;   in Loop: Header=BB56_33 Depth=1
	ds_load_b32 v2, v3 offset:8280
	s_wait_dscnt 0x0
	v_add_nc_u32_e32 v10, v10, v2
	s_or_b32 exec_lo, exec_lo, s21
	s_and_saveexec_b32 s21, s12
	s_cbranch_execz .LBB56_46
.LBB56_62:                              ;   in Loop: Header=BB56_33 Depth=1
	ds_load_b32 v2, v3 offset:8288
	s_wait_dscnt 0x0
	v_add_nc_u32_e32 v10, v10, v2
	s_or_b32 exec_lo, exec_lo, s21
	s_and_saveexec_b32 s21, s13
	s_cbranch_execz .LBB56_47
.LBB56_63:                              ;   in Loop: Header=BB56_33 Depth=1
	ds_load_b32 v2, v3 offset:8296
	s_wait_dscnt 0x0
	v_add_nc_u32_e32 v10, v10, v2
	s_or_b32 exec_lo, exec_lo, s21
	s_and_saveexec_b32 s21, s14
	s_cbranch_execz .LBB56_48
.LBB56_64:                              ;   in Loop: Header=BB56_33 Depth=1
	ds_load_b32 v2, v3 offset:8304
	s_wait_dscnt 0x0
	v_add_nc_u32_e32 v10, v10, v2
	s_or_b32 exec_lo, exec_lo, s21
	s_delay_alu instid0(VALU_DEP_1)
	v_ashrrev_i32_e32 v11, 31, v10
	s_and_saveexec_b32 s21, s15
	s_cbranch_execz .LBB56_49
.LBB56_65:                              ;   in Loop: Header=BB56_33 Depth=1
	v_lshlrev_b32_e32 v2, 3, v6
	v_lshlrev_b32_e32 v5, 3, v10
	s_delay_alu instid0(VALU_DEP_2) | instskip(NEXT) | instid1(VALU_DEP_1)
	v_add_nc_u32_e32 v2, 0, v2
	v_add3_u32 v2, v2, v5, -8
	ds_store_b64 v2, v[8:9]
	s_or_b32 exec_lo, exec_lo, s21
	s_and_saveexec_b32 s15, vcc_lo
	s_cbranch_execz .LBB56_32
.LBB56_66:                              ;   in Loop: Header=BB56_33 Depth=1
	ds_store_b64 v3, v[10:11] offset:8312
	s_branch .LBB56_32
.LBB56_67:
	s_or_b32 exec_lo, exec_lo, s20
	s_wait_kmcnt 0x0
	s_lshl_b64 s[0:1], s[18:19], 3
	v_mov_b32_e32 v1, 0
	s_add_nc_u64 s[4:5], s[30:31], s[0:1]
	s_mov_b32 s6, exec_lo
	s_load_b128 s[0:3], s[4:5], 0x0
	s_wait_kmcnt 0x0
	s_sub_nc_u64 s[4:5], s[2:3], s[0:1]
	s_delay_alu instid0(SALU_CYCLE_1)
	v_cmpx_gt_i64_e64 s[4:5], v[0:1]
	s_cbranch_execz .LBB56_77
; %bb.68:
	s_sub_nc_u64 s[8:9], s[0:1], s[2:3]
	s_and_b64 s[6:7], s[4:5], 7
	v_cmp_lt_u64_e64 s10, s[8:9], -7
	s_and_b64 s[2:3], s[4:5], -8
	s_mov_b32 s27, 0
	s_cmp_lg_u64 s[6:7], 0
	s_sub_nc_u64 s[0:1], s[0:1], s[26:27]
	s_cselect_b32 s11, -1, 0
	s_mov_b32 s12, s27
	s_branch .LBB56_70
.LBB56_69:                              ;   in Loop: Header=BB56_70 Depth=1
	v_add_nc_u64_e32 v[0:1], 0x200, v[0:1]
	s_wait_dscnt 0x0
	v_add_nc_u64_e32 v[2:3], s[26:27], v[2:3]
	s_delay_alu instid0(VALU_DEP_3) | instskip(NEXT) | instid1(VALU_DEP_3)
	v_lshl_add_u64 v[4:5], v[4:5], 3, s[34:35]
	v_cmp_le_i64_e32 vcc_lo, s[4:5], v[0:1]
	global_store_b64 v[4:5], v[2:3], off
	s_or_b32 s12, vcc_lo, s12
	s_wait_xcnt 0x0
	s_and_not1_b32 exec_lo, exec_lo, s12
	s_cbranch_execz .LBB56_77
.LBB56_70:                              ; =>This Loop Header: Depth=1
                                        ;     Child Loop BB56_72 Depth 2
                                        ;     Child Loop BB56_76 Depth 2
	v_lshl_add_u32 v2, v0, 3, 0
	v_mov_b64_e32 v[4:5], s[0:1]
	s_and_not1_b32 vcc_lo, exec_lo, s10
	s_mov_b64 s[8:9], 0
	ds_load_b64 v[2:3], v2
	s_cbranch_vccnz .LBB56_74
; %bb.71:                               ;   in Loop: Header=BB56_70 Depth=1
	v_mov_b64_e32 v[4:5], s[0:1]
	s_mov_b32 s13, 0
.LBB56_72:                              ;   Parent Loop BB56_70 Depth=1
                                        ; =>  This Inner Loop Header: Depth=2
	s_delay_alu instid0(SALU_CYCLE_1)
	v_dual_mov_b32 v18, s13 :: v_dual_mov_b32 v15, s27
	v_mov_b32_e32 v17, s27
	s_add_nc_u64 s[8:9], s[8:9], 8
	s_add_co_i32 s13, s13, 64
	ds_load_2addr_b64 v[6:9], v18 offset1:1
	ds_load_2addr_b64 v[10:13], v18 offset0:2 offset1:3
	s_cmp_eq_u64 s[2:3], s[8:9]
	s_wait_dscnt 0x1
	v_cmp_gt_i64_e32 vcc_lo, v[2:3], v[6:7]
	v_cndmask_b32_e64 v14, 0, 1, vcc_lo
	v_cmp_gt_i64_e32 vcc_lo, v[2:3], v[8:9]
	s_delay_alu instid0(VALU_DEP_2) | instskip(SKIP_4) | instid1(VALU_DEP_2)
	v_add_nc_u64_e32 v[8:9], v[4:5], v[14:15]
	ds_load_2addr_b64 v[4:7], v18 offset0:4 offset1:5
	v_cndmask_b32_e64 v16, 0, 1, vcc_lo
	s_wait_dscnt 0x1
	v_cmp_gt_i64_e32 vcc_lo, v[2:3], v[10:11]
	v_add_nc_u64_e32 v[8:9], v[8:9], v[16:17]
	v_cndmask_b32_e64 v14, 0, 1, vcc_lo
	v_cmp_gt_i64_e32 vcc_lo, v[2:3], v[12:13]
	s_delay_alu instid0(VALU_DEP_2)
	v_add_nc_u64_e32 v[12:13], v[8:9], v[14:15]
	ds_load_2addr_b64 v[8:11], v18 offset0:6 offset1:7
	v_cndmask_b32_e64 v16, 0, 1, vcc_lo
	s_wait_dscnt 0x1
	v_cmp_gt_i64_e32 vcc_lo, v[2:3], v[4:5]
	v_mov_b32_e32 v5, s27
	s_delay_alu instid0(VALU_DEP_3) | instskip(SKIP_3) | instid1(VALU_DEP_3)
	v_add_nc_u64_e32 v[12:13], v[12:13], v[16:17]
	v_cndmask_b32_e64 v14, 0, 1, vcc_lo
	v_cmp_gt_i64_e32 vcc_lo, v[2:3], v[6:7]
	v_mov_b32_e32 v7, s27
	v_add_nc_u64_e32 v[12:13], v[12:13], v[14:15]
	v_cndmask_b32_e64 v4, 0, 1, vcc_lo
	s_wait_dscnt 0x0
	v_cmp_gt_i64_e32 vcc_lo, v[2:3], v[8:9]
	v_mov_b32_e32 v9, s27
	s_delay_alu instid0(VALU_DEP_3) | instskip(SKIP_2) | instid1(VALU_DEP_2)
	v_add_nc_u64_e32 v[4:5], v[12:13], v[4:5]
	v_cndmask_b32_e64 v6, 0, 1, vcc_lo
	v_cmp_gt_i64_e32 vcc_lo, v[2:3], v[10:11]
	v_add_nc_u64_e32 v[4:5], v[4:5], v[6:7]
	v_cndmask_b32_e64 v8, 0, 1, vcc_lo
	s_delay_alu instid0(VALU_DEP_1)
	v_add_nc_u64_e32 v[4:5], v[4:5], v[8:9]
	s_cbranch_scc0 .LBB56_72
; %bb.73:                               ;   in Loop: Header=BB56_70 Depth=1
	s_mov_b64 s[8:9], s[2:3]
.LBB56_74:                              ;   in Loop: Header=BB56_70 Depth=1
	s_and_not1_b32 vcc_lo, exec_lo, s11
	s_cbranch_vccnz .LBB56_69
; %bb.75:                               ;   in Loop: Header=BB56_70 Depth=1
	s_lshl_b32 s8, s8, 3
	s_delay_alu instid0(SALU_CYCLE_1)
	s_add_co_i32 s13, s8, 0
	s_mov_b64 s[8:9], s[6:7]
.LBB56_76:                              ;   Parent Loop BB56_70 Depth=1
                                        ; =>  This Inner Loop Header: Depth=2
	v_dual_mov_b32 v6, s13 :: v_dual_mov_b32 v9, s27
	s_add_nc_u64 s[8:9], s[8:9], -1
	s_add_co_i32 s13, s13, 8
	s_cmp_lg_u64 s[8:9], 0
	ds_load_b64 v[6:7], v6
	s_wait_dscnt 0x0
	v_cmp_gt_i64_e32 vcc_lo, v[2:3], v[6:7]
	v_cndmask_b32_e64 v8, 0, 1, vcc_lo
	s_delay_alu instid0(VALU_DEP_1)
	v_add_nc_u64_e32 v[4:5], v[4:5], v[8:9]
	s_cbranch_scc1 .LBB56_76
	s_branch .LBB56_69
.LBB56_77:
	s_endpgm
	.section	.rodata,"a",@progbits
	.p2align	6, 0x0
	.amdhsa_kernel _ZN9rocsparseL35csrgemm_symbolic_fill_block_per_rowILj512ELj32ELj1024ELj137ELj32EllEEvT5_PKS1_S3_PKT4_S3_S6_S3_S6_S3_S6_PS1_21rocsparse_index_base_S8_S8_S8_bb
		.amdhsa_group_segment_fixed_size 0
		.amdhsa_private_segment_fixed_size 0
		.amdhsa_kernarg_size 108
		.amdhsa_user_sgpr_count 2
		.amdhsa_user_sgpr_dispatch_ptr 0
		.amdhsa_user_sgpr_queue_ptr 0
		.amdhsa_user_sgpr_kernarg_segment_ptr 1
		.amdhsa_user_sgpr_dispatch_id 0
		.amdhsa_user_sgpr_kernarg_preload_length 0
		.amdhsa_user_sgpr_kernarg_preload_offset 0
		.amdhsa_user_sgpr_private_segment_size 0
		.amdhsa_wavefront_size32 1
		.amdhsa_uses_dynamic_stack 0
		.amdhsa_enable_private_segment 0
		.amdhsa_system_sgpr_workgroup_id_x 1
		.amdhsa_system_sgpr_workgroup_id_y 0
		.amdhsa_system_sgpr_workgroup_id_z 0
		.amdhsa_system_sgpr_workgroup_info 0
		.amdhsa_system_vgpr_workitem_id 0
		.amdhsa_next_free_vgpr 19
		.amdhsa_next_free_sgpr 37
		.amdhsa_named_barrier_count 0
		.amdhsa_reserve_vcc 1
		.amdhsa_float_round_mode_32 0
		.amdhsa_float_round_mode_16_64 0
		.amdhsa_float_denorm_mode_32 3
		.amdhsa_float_denorm_mode_16_64 3
		.amdhsa_fp16_overflow 0
		.amdhsa_memory_ordered 1
		.amdhsa_forward_progress 1
		.amdhsa_inst_pref_size 22
		.amdhsa_round_robin_scheduling 0
		.amdhsa_exception_fp_ieee_invalid_op 0
		.amdhsa_exception_fp_denorm_src 0
		.amdhsa_exception_fp_ieee_div_zero 0
		.amdhsa_exception_fp_ieee_overflow 0
		.amdhsa_exception_fp_ieee_underflow 0
		.amdhsa_exception_fp_ieee_inexact 0
		.amdhsa_exception_int_div_zero 0
	.end_amdhsa_kernel
	.section	.text._ZN9rocsparseL35csrgemm_symbolic_fill_block_per_rowILj512ELj32ELj1024ELj137ELj32EllEEvT5_PKS1_S3_PKT4_S3_S6_S3_S6_S3_S6_PS1_21rocsparse_index_base_S8_S8_S8_bb,"axG",@progbits,_ZN9rocsparseL35csrgemm_symbolic_fill_block_per_rowILj512ELj32ELj1024ELj137ELj32EllEEvT5_PKS1_S3_PKT4_S3_S6_S3_S6_S3_S6_PS1_21rocsparse_index_base_S8_S8_S8_bb,comdat
.Lfunc_end56:
	.size	_ZN9rocsparseL35csrgemm_symbolic_fill_block_per_rowILj512ELj32ELj1024ELj137ELj32EllEEvT5_PKS1_S3_PKT4_S3_S6_S3_S6_S3_S6_PS1_21rocsparse_index_base_S8_S8_S8_bb, .Lfunc_end56-_ZN9rocsparseL35csrgemm_symbolic_fill_block_per_rowILj512ELj32ELj1024ELj137ELj32EllEEvT5_PKS1_S3_PKT4_S3_S6_S3_S6_S3_S6_PS1_21rocsparse_index_base_S8_S8_S8_bb
                                        ; -- End function
	.set _ZN9rocsparseL35csrgemm_symbolic_fill_block_per_rowILj512ELj32ELj1024ELj137ELj32EllEEvT5_PKS1_S3_PKT4_S3_S6_S3_S6_S3_S6_PS1_21rocsparse_index_base_S8_S8_S8_bb.num_vgpr, 19
	.set _ZN9rocsparseL35csrgemm_symbolic_fill_block_per_rowILj512ELj32ELj1024ELj137ELj32EllEEvT5_PKS1_S3_PKT4_S3_S6_S3_S6_S3_S6_PS1_21rocsparse_index_base_S8_S8_S8_bb.num_agpr, 0
	.set _ZN9rocsparseL35csrgemm_symbolic_fill_block_per_rowILj512ELj32ELj1024ELj137ELj32EllEEvT5_PKS1_S3_PKT4_S3_S6_S3_S6_S3_S6_PS1_21rocsparse_index_base_S8_S8_S8_bb.numbered_sgpr, 37
	.set _ZN9rocsparseL35csrgemm_symbolic_fill_block_per_rowILj512ELj32ELj1024ELj137ELj32EllEEvT5_PKS1_S3_PKT4_S3_S6_S3_S6_S3_S6_PS1_21rocsparse_index_base_S8_S8_S8_bb.num_named_barrier, 0
	.set _ZN9rocsparseL35csrgemm_symbolic_fill_block_per_rowILj512ELj32ELj1024ELj137ELj32EllEEvT5_PKS1_S3_PKT4_S3_S6_S3_S6_S3_S6_PS1_21rocsparse_index_base_S8_S8_S8_bb.private_seg_size, 0
	.set _ZN9rocsparseL35csrgemm_symbolic_fill_block_per_rowILj512ELj32ELj1024ELj137ELj32EllEEvT5_PKS1_S3_PKT4_S3_S6_S3_S6_S3_S6_PS1_21rocsparse_index_base_S8_S8_S8_bb.uses_vcc, 1
	.set _ZN9rocsparseL35csrgemm_symbolic_fill_block_per_rowILj512ELj32ELj1024ELj137ELj32EllEEvT5_PKS1_S3_PKT4_S3_S6_S3_S6_S3_S6_PS1_21rocsparse_index_base_S8_S8_S8_bb.uses_flat_scratch, 0
	.set _ZN9rocsparseL35csrgemm_symbolic_fill_block_per_rowILj512ELj32ELj1024ELj137ELj32EllEEvT5_PKS1_S3_PKT4_S3_S6_S3_S6_S3_S6_PS1_21rocsparse_index_base_S8_S8_S8_bb.has_dyn_sized_stack, 0
	.set _ZN9rocsparseL35csrgemm_symbolic_fill_block_per_rowILj512ELj32ELj1024ELj137ELj32EllEEvT5_PKS1_S3_PKT4_S3_S6_S3_S6_S3_S6_PS1_21rocsparse_index_base_S8_S8_S8_bb.has_recursion, 0
	.set _ZN9rocsparseL35csrgemm_symbolic_fill_block_per_rowILj512ELj32ELj1024ELj137ELj32EllEEvT5_PKS1_S3_PKT4_S3_S6_S3_S6_S3_S6_PS1_21rocsparse_index_base_S8_S8_S8_bb.has_indirect_call, 0
	.section	.AMDGPU.csdata,"",@progbits
; Kernel info:
; codeLenInByte = 2752
; TotalNumSgprs: 39
; NumVgprs: 19
; ScratchSize: 0
; MemoryBound: 0
; FloatMode: 240
; IeeeMode: 1
; LDSByteSize: 0 bytes/workgroup (compile time only)
; SGPRBlocks: 0
; VGPRBlocks: 1
; NumSGPRsForWavesPerEU: 39
; NumVGPRsForWavesPerEU: 19
; NamedBarCnt: 0
; Occupancy: 16
; WaveLimiterHint : 1
; COMPUTE_PGM_RSRC2:SCRATCH_EN: 0
; COMPUTE_PGM_RSRC2:USER_SGPR: 2
; COMPUTE_PGM_RSRC2:TRAP_HANDLER: 0
; COMPUTE_PGM_RSRC2:TGID_X_EN: 1
; COMPUTE_PGM_RSRC2:TGID_Y_EN: 0
; COMPUTE_PGM_RSRC2:TGID_Z_EN: 0
; COMPUTE_PGM_RSRC2:TIDIG_COMP_CNT: 0
	.section	.text._ZN9rocsparseL35csrgemm_symbolic_fill_block_per_rowILj512ELj32ELj1024ELj137ELj64EllEEvT5_PKS1_S3_PKT4_S3_S6_S3_S6_S3_S6_PS1_21rocsparse_index_base_S8_S8_S8_bb,"axG",@progbits,_ZN9rocsparseL35csrgemm_symbolic_fill_block_per_rowILj512ELj32ELj1024ELj137ELj64EllEEvT5_PKS1_S3_PKT4_S3_S6_S3_S6_S3_S6_PS1_21rocsparse_index_base_S8_S8_S8_bb,comdat
	.globl	_ZN9rocsparseL35csrgemm_symbolic_fill_block_per_rowILj512ELj32ELj1024ELj137ELj64EllEEvT5_PKS1_S3_PKT4_S3_S6_S3_S6_S3_S6_PS1_21rocsparse_index_base_S8_S8_S8_bb ; -- Begin function _ZN9rocsparseL35csrgemm_symbolic_fill_block_per_rowILj512ELj32ELj1024ELj137ELj64EllEEvT5_PKS1_S3_PKT4_S3_S6_S3_S6_S3_S6_PS1_21rocsparse_index_base_S8_S8_S8_bb
	.p2align	8
	.type	_ZN9rocsparseL35csrgemm_symbolic_fill_block_per_rowILj512ELj32ELj1024ELj137ELj64EllEEvT5_PKS1_S3_PKT4_S3_S6_S3_S6_S3_S6_PS1_21rocsparse_index_base_S8_S8_S8_bb,@function
_ZN9rocsparseL35csrgemm_symbolic_fill_block_per_rowILj512ELj32ELj1024ELj137ELj64EllEEvT5_PKS1_S3_PKT4_S3_S6_S3_S6_S3_S6_PS1_21rocsparse_index_base_S8_S8_S8_bb: ; @_ZN9rocsparseL35csrgemm_symbolic_fill_block_per_rowILj512ELj32ELj1024ELj137ELj64EllEEvT5_PKS1_S3_PKT4_S3_S6_S3_S6_S3_S6_PS1_21rocsparse_index_base_S8_S8_S8_bb
; %bb.0:
	s_clause 0x3
	s_load_b256 s[8:15], s[0:1], 0x0
	s_load_b64 s[34:35], s[0:1], 0x50
	s_load_b128 s[28:31], s[0:1], 0x40
	s_load_b256 s[16:23], s[0:1], 0x20
	v_lshl_add_u32 v13, v0, 3, 0
	v_or_b32_e32 v16, 0xfffffe00, v0
	s_mov_b32 s2, 0
	s_delay_alu instid0(VALU_DEP_1)
	v_dual_mov_b32 v1, v13 :: v_dual_mov_b32 v4, v16
	s_wait_kmcnt 0x0
	v_mov_b64_e32 v[2:3], s[8:9]
.LBB57_1:                               ; =>This Inner Loop Header: Depth=1
	s_delay_alu instid0(VALU_DEP_2) | instskip(SKIP_4) | instid1(SALU_CYCLE_1)
	v_add_co_u32 v4, s3, 0x200, v4
	s_xor_b32 s3, s3, -1
	ds_store_b64 v1, v[2:3]
	v_add_nc_u32_e32 v1, 0x1000, v1
	s_and_b32 s3, exec_lo, s3
	s_or_b32 s2, s3, s2
	s_delay_alu instid0(SALU_CYCLE_1)
	s_and_not1_b32 exec_lo, exec_lo, s2
	s_cbranch_execnz .LBB57_1
; %bb.2:
	s_or_b32 exec_lo, exec_lo, s2
	s_load_b32 s6, s[0:1], 0x68
	s_wait_dscnt 0x0
	s_barrier_signal -1
	s_barrier_wait -1
	s_load_b64 s[2:3], s[10:11], 0x0
	s_wait_xcnt 0x0
	s_getreg_b32 s10, hwreg(HW_REG_IB_STS2, 6, 4)
	s_wait_kmcnt 0x0
	s_bitcmp1_b32 s6, 0
	s_cselect_b32 s4, -1, 0
	s_bfe_u32 s5, ttmp6, 0x4000c
	s_and_b32 s7, ttmp6, 15
	s_add_co_i32 s5, s5, 1
	s_lshl_b64 s[2:3], s[2:3], 3
	s_mul_i32 s5, ttmp9, s5
	s_add_nc_u64 s[2:3], s[12:13], s[2:3]
	s_add_co_i32 s7, s7, s5
	s_cmp_eq_u32 s10, 0
	s_cselect_b32 s5, ttmp9, s7
	s_load_b128 s[24:27], s[0:1], 0x58
	s_load_b64 s[10:11], s[2:3], s5 offset:0x0 scale_offset
	s_and_b32 vcc_lo, exec_lo, s4
	s_wait_xcnt 0x0
	s_mov_b32 s1, 0
	s_cbranch_vccz .LBB57_18
; %bb.3:
	s_wait_kmcnt 0x0
	s_lshl_b64 s[2:3], s[10:11], 3
	v_dual_mov_b32 v5, 0 :: v_dual_lshrrev_b32 v4, 5, v0
	s_add_nc_u64 s[2:3], s[14:15], s[2:3]
	s_mov_b32 s0, s24
	s_load_b128 s[12:15], s[2:3], 0x0
	s_mov_b32 s7, exec_lo
	v_sub_nc_u64_e64 v[2:3], v[4:5], s[0:1]
	s_wait_kmcnt 0x0
	s_delay_alu instid0(VALU_DEP_1)
	v_add_nc_u64_e32 v[2:3], s[12:13], v[2:3]
	s_sub_nc_u64 s[2:3], s[14:15], s[0:1]
	s_delay_alu instid0(VALU_DEP_1) | instid1(SALU_CYCLE_1)
	v_cmpx_gt_i64_e64 s[2:3], v[2:3]
	s_cbranch_execz .LBB57_17
; %bb.4:
	v_and_b32_e32 v4, 31, v0
	s_mov_b32 s5, 0
	s_mov_b32 s4, s25
	;; [unrolled: 1-line block ×3, first 2 shown]
	s_delay_alu instid0(VALU_DEP_1)
	v_sub_nc_u64_e64 v[4:5], v[4:5], s[4:5]
	s_branch .LBB57_6
.LBB57_5:                               ;   in Loop: Header=BB57_6 Depth=1
	s_or_b32 exec_lo, exec_lo, s13
	v_add_nc_u64_e32 v[2:3], 16, v[2:3]
	s_delay_alu instid0(VALU_DEP_1) | instskip(SKIP_1) | instid1(SALU_CYCLE_1)
	v_cmp_le_i64_e32 vcc_lo, s[2:3], v[2:3]
	s_or_b32 s12, vcc_lo, s12
	s_and_not1_b32 exec_lo, exec_lo, s12
	s_cbranch_execz .LBB57_17
.LBB57_6:                               ; =>This Loop Header: Depth=1
                                        ;     Child Loop BB57_9 Depth 2
                                        ;       Child Loop BB57_12 Depth 3
	v_lshl_add_u64 v[6:7], v[2:3], 3, s[16:17]
	s_mov_b32 s13, exec_lo
	global_load_b64 v[6:7], v[6:7], off
	s_wait_loadcnt 0x0
	v_sub_nc_u64_e64 v[6:7], v[6:7], s[0:1]
	s_delay_alu instid0(VALU_DEP_1) | instskip(SKIP_4) | instid1(VALU_DEP_1)
	v_lshl_add_u64 v[6:7], v[6:7], 3, s[18:19]
	global_load_b128 v[8:11], v[6:7], off
	s_wait_loadcnt 0x0
	v_sub_nc_u64_e64 v[6:7], v[10:11], s[4:5]
	v_add_nc_u64_e32 v[8:9], v[8:9], v[4:5]
	v_cmpx_lt_i64_e64 v[8:9], v[6:7]
	s_cbranch_execz .LBB57_5
; %bb.7:                                ;   in Loop: Header=BB57_6 Depth=1
	s_mov_b32 s14, 0
	s_branch .LBB57_9
.LBB57_8:                               ;   in Loop: Header=BB57_9 Depth=2
	s_or_b32 exec_lo, exec_lo, s15
	v_add_nc_u64_e32 v[8:9], 32, v[8:9]
	s_delay_alu instid0(VALU_DEP_1) | instskip(SKIP_1) | instid1(SALU_CYCLE_1)
	v_cmp_ge_i64_e32 vcc_lo, v[8:9], v[6:7]
	s_or_b32 s14, vcc_lo, s14
	s_and_not1_b32 exec_lo, exec_lo, s14
	s_cbranch_execz .LBB57_5
.LBB57_9:                               ;   Parent Loop BB57_6 Depth=1
                                        ; =>  This Loop Header: Depth=2
                                        ;       Child Loop BB57_12 Depth 3
	v_lshl_add_u64 v[10:11], v[8:9], 3, s[20:21]
	s_mov_b32 s15, 0
                                        ; implicit-def: $sgpr24
	global_load_b64 v[10:11], v[10:11], off
	s_wait_loadcnt 0x0
	v_sub_nc_u64_e64 v[10:11], v[10:11], s[4:5]
	s_delay_alu instid0(VALU_DEP_1) | instskip(NEXT) | instid1(VALU_DEP_1)
	v_mul_lo_u32 v1, 0x89, v10
	v_and_b32_e32 v12, 0x3ff, v1
	s_branch .LBB57_12
.LBB57_10:                              ;   in Loop: Header=BB57_12 Depth=3
	s_or_b32 exec_lo, exec_lo, s33
	s_delay_alu instid0(SALU_CYCLE_1) | instskip(SKIP_1) | instid1(SALU_CYCLE_1)
	s_and_not1_b32 s24, s24, exec_lo
	s_and_b32 s33, s36, exec_lo
	s_or_b32 s24, s24, s33
.LBB57_11:                              ;   in Loop: Header=BB57_12 Depth=3
	s_or_b32 exec_lo, exec_lo, s25
	s_xor_b32 s25, s24, -1
	s_delay_alu instid0(SALU_CYCLE_1) | instskip(NEXT) | instid1(SALU_CYCLE_1)
	s_and_b32 s25, exec_lo, s25
	s_or_b32 s15, s25, s15
	s_delay_alu instid0(SALU_CYCLE_1)
	s_and_not1_b32 exec_lo, exec_lo, s15
	s_cbranch_execz .LBB57_8
.LBB57_12:                              ;   Parent Loop BB57_6 Depth=1
                                        ;     Parent Loop BB57_9 Depth=2
                                        ; =>    This Inner Loop Header: Depth=3
	s_delay_alu instid0(VALU_DEP_1)
	v_lshl_add_u32 v1, v12, 3, 0
	s_and_not1_b32 s24, s24, exec_lo
	s_mov_b32 s25, exec_lo
	ds_load_b64 v[14:15], v1
	s_wait_dscnt 0x0
	v_cmpx_ne_u64_e64 v[14:15], v[10:11]
	s_cbranch_execz .LBB57_11
; %bb.13:                               ;   in Loop: Header=BB57_12 Depth=3
	s_mov_b32 s33, exec_lo
	v_cmpx_ne_u64_e64 s[8:9], v[14:15]
	s_xor_b32 s33, exec_lo, s33
; %bb.14:                               ;   in Loop: Header=BB57_12 Depth=3
	v_add_nc_u32_e32 v1, 1, v12
	s_delay_alu instid0(VALU_DEP_1)
	v_and_b32_e32 v12, 0x3ff, v1
                                        ; implicit-def: $vgpr1
; %bb.15:                               ;   in Loop: Header=BB57_12 Depth=3
	s_or_saveexec_b32 s33, s33
	s_mov_b32 s36, -1
	s_xor_b32 exec_lo, exec_lo, s33
	s_cbranch_execz .LBB57_10
; %bb.16:                               ;   in Loop: Header=BB57_12 Depth=3
	v_mov_b64_e32 v[14:15], s[8:9]
	ds_cmpstore_rtn_b64 v[14:15], v1, v[10:11], v[14:15]
	s_wait_dscnt 0x0
	v_cmp_ne_u64_e32 vcc_lo, s[8:9], v[14:15]
	s_or_not1_b32 s36, vcc_lo, exec_lo
	s_branch .LBB57_10
.LBB57_17:
	s_or_b32 exec_lo, exec_lo, s7
.LBB57_18:
	s_bfe_u32 s0, s6, 0x10008
	s_delay_alu instid0(SALU_CYCLE_1)
	s_cmp_eq_u32 s0, 0
	s_cbranch_scc1 .LBB57_31
; %bb.19:
	s_wait_kmcnt 0x0
	s_lshl_b64 s[0:1], s[10:11], 3
	v_mov_b32_e32 v1, 0
	s_add_nc_u64 s[0:1], s[22:23], s[0:1]
	s_load_b128 s[4:7], s[0:1], 0x0
	s_wait_xcnt 0x0
	s_mov_b32 s1, 0
	s_mov_b32 s0, s27
	s_delay_alu instid0(SALU_CYCLE_1) | instskip(SKIP_1) | instid1(VALU_DEP_1)
	v_sub_nc_u64_e64 v[2:3], v[0:1], s[0:1]
	s_wait_kmcnt 0x0
	v_add_nc_u64_e32 v[2:3], s[4:5], v[2:3]
	s_sub_nc_u64 s[2:3], s[6:7], s[0:1]
	s_mov_b32 s4, exec_lo
	s_delay_alu instid0(VALU_DEP_1)
	v_cmpx_gt_i64_e64 s[2:3], v[2:3]
	s_cbranch_execz .LBB57_30
; %bb.20:
	s_mov_b32 s5, s1
	s_branch .LBB57_22
.LBB57_21:                              ;   in Loop: Header=BB57_22 Depth=1
	s_or_b32 exec_lo, exec_lo, s6
	v_add_nc_u64_e32 v[2:3], 0x200, v[2:3]
	s_delay_alu instid0(VALU_DEP_1) | instskip(SKIP_1) | instid1(SALU_CYCLE_1)
	v_cmp_le_i64_e32 vcc_lo, s[2:3], v[2:3]
	s_or_b32 s5, vcc_lo, s5
	s_and_not1_b32 exec_lo, exec_lo, s5
	s_cbranch_execz .LBB57_30
.LBB57_22:                              ; =>This Loop Header: Depth=1
                                        ;     Child Loop BB57_25 Depth 2
	v_lshl_add_u64 v[4:5], v[2:3], 3, s[28:29]
	s_mov_b32 s6, 0
                                        ; implicit-def: $sgpr7
	global_load_b64 v[4:5], v[4:5], off
	s_wait_loadcnt 0x0
	v_sub_nc_u64_e64 v[4:5], v[4:5], s[0:1]
	s_delay_alu instid0(VALU_DEP_1) | instskip(NEXT) | instid1(VALU_DEP_1)
	v_mul_lo_u32 v1, 0x89, v4
	v_and_b32_e32 v6, 0x3ff, v1
	s_branch .LBB57_25
.LBB57_23:                              ;   in Loop: Header=BB57_25 Depth=2
	s_or_b32 exec_lo, exec_lo, s13
	s_delay_alu instid0(SALU_CYCLE_1) | instskip(SKIP_1) | instid1(SALU_CYCLE_1)
	s_and_not1_b32 s7, s7, exec_lo
	s_and_b32 s13, s14, exec_lo
	s_or_b32 s7, s7, s13
.LBB57_24:                              ;   in Loop: Header=BB57_25 Depth=2
	s_or_b32 exec_lo, exec_lo, s12
	s_xor_b32 s12, s7, -1
	s_delay_alu instid0(SALU_CYCLE_1) | instskip(NEXT) | instid1(SALU_CYCLE_1)
	s_and_b32 s12, exec_lo, s12
	s_or_b32 s6, s12, s6
	s_delay_alu instid0(SALU_CYCLE_1)
	s_and_not1_b32 exec_lo, exec_lo, s6
	s_cbranch_execz .LBB57_21
.LBB57_25:                              ;   Parent Loop BB57_22 Depth=1
                                        ; =>  This Inner Loop Header: Depth=2
	s_delay_alu instid0(VALU_DEP_1)
	v_lshl_add_u32 v1, v6, 3, 0
	s_and_not1_b32 s7, s7, exec_lo
	s_mov_b32 s12, exec_lo
	ds_load_b64 v[8:9], v1
	s_wait_dscnt 0x0
	v_cmpx_ne_u64_e64 v[8:9], v[4:5]
	s_cbranch_execz .LBB57_24
; %bb.26:                               ;   in Loop: Header=BB57_25 Depth=2
	s_mov_b32 s13, exec_lo
	v_cmpx_ne_u64_e64 s[8:9], v[8:9]
	s_xor_b32 s13, exec_lo, s13
; %bb.27:                               ;   in Loop: Header=BB57_25 Depth=2
	v_add_nc_u32_e32 v1, 1, v6
	s_delay_alu instid0(VALU_DEP_1)
	v_and_b32_e32 v6, 0x3ff, v1
                                        ; implicit-def: $vgpr1
; %bb.28:                               ;   in Loop: Header=BB57_25 Depth=2
	s_or_saveexec_b32 s13, s13
	s_mov_b32 s14, -1
	s_xor_b32 exec_lo, exec_lo, s13
	s_cbranch_execz .LBB57_23
; %bb.29:                               ;   in Loop: Header=BB57_25 Depth=2
	v_mov_b64_e32 v[8:9], s[8:9]
	ds_cmpstore_rtn_b64 v[8:9], v1, v[4:5], v[8:9]
	s_wait_dscnt 0x0
	v_cmp_ne_u64_e32 vcc_lo, s[8:9], v[8:9]
	s_or_not1_b32 s14, vcc_lo, exec_lo
	s_branch .LBB57_23
.LBB57_30:
	s_or_b32 exec_lo, exec_lo, s4
.LBB57_31:
	v_mbcnt_lo_u32_b32 v1, -1, 0
	v_dual_mov_b32 v3, 0 :: v_dual_lshrrev_b32 v2, 3, v0
	v_mov_b64_e32 v[6:7], 0
	v_cmp_lt_u32_e64 s0, 63, v0
	s_delay_alu instid0(VALU_DEP_4) | instskip(NEXT) | instid1(VALU_DEP_4)
	v_xor_b32_e32 v1, 31, v1
	v_and_b32_e32 v2, 56, v2
	v_cmp_lt_u32_e64 s1, 0x7f, v0
	v_cmp_lt_u32_e64 s2, 0xbf, v0
	;; [unrolled: 1-line block ×3, first 2 shown]
	v_lshrrev_b32_e64 v4, v1, -1
	v_add_nc_u32_e32 v1, 0, v2
	v_cmp_lt_u32_e64 s4, 0x13f, v0
	v_cmp_lt_u32_e64 s5, 0x17f, v0
	;; [unrolled: 1-line block ×3, first 2 shown]
	s_mov_b32 s12, 0
	v_cmp_eq_u32_e32 vcc_lo, 0x1ff, v0
	s_barrier_signal -1
	s_barrier_wait -1
	s_branch .LBB57_33
.LBB57_32:                              ;   in Loop: Header=BB57_33 Depth=1
	s_or_b32 exec_lo, exec_lo, s7
	s_wait_dscnt 0x0
	s_barrier_signal -1
	s_barrier_wait -1
	ds_load_b64 v[8:9], v3 offset:8248
	v_add_co_u32 v16, s7, 0x200, v16
	s_xor_b32 s7, s7, -1
	v_add_nc_u32_e32 v13, 0x1000, v13
	s_and_b32 s7, exec_lo, s7
	s_delay_alu instid0(SALU_CYCLE_1)
	s_or_b32 s12, s7, s12
	s_wait_dscnt 0x0
	v_add_nc_u64_e32 v[6:7], v[8:9], v[6:7]
	s_and_not1_b32 exec_lo, exec_lo, s12
	s_cbranch_execz .LBB57_51
.LBB57_33:                              ; =>This Inner Loop Header: Depth=1
	ds_load_b64 v[8:9], v13
	s_wait_dscnt 0x0
	s_barrier_signal -1
	s_barrier_wait -1
	v_cmp_gt_i64_e64 s7, s[8:9], v[8:9]
	s_bcnt1_i32_b32 s13, s7
	s_delay_alu instid0(SALU_CYCLE_1) | instskip(NEXT) | instid1(VALU_DEP_1)
	v_dual_mov_b32 v2, s13 :: v_dual_bitop2_b32 v5, s7, v4 bitop3:0x40
	v_bcnt_u32_b32 v10, v5, 0
	ds_store_b64 v1, v[2:3] offset:8192
	s_wait_dscnt 0x0
	s_barrier_signal -1
	s_barrier_wait -1
	s_and_saveexec_b32 s13, s0
	s_cbranch_execnz .LBB57_42
; %bb.34:                               ;   in Loop: Header=BB57_33 Depth=1
	s_or_b32 exec_lo, exec_lo, s13
	s_and_saveexec_b32 s13, s1
	s_cbranch_execnz .LBB57_43
.LBB57_35:                              ;   in Loop: Header=BB57_33 Depth=1
	s_or_b32 exec_lo, exec_lo, s13
	s_and_saveexec_b32 s13, s2
	s_cbranch_execnz .LBB57_44
.LBB57_36:                              ;   in Loop: Header=BB57_33 Depth=1
	s_or_b32 exec_lo, exec_lo, s13
	s_and_saveexec_b32 s13, s3
	s_cbranch_execnz .LBB57_45
.LBB57_37:                              ;   in Loop: Header=BB57_33 Depth=1
	s_or_b32 exec_lo, exec_lo, s13
	s_and_saveexec_b32 s13, s4
	s_cbranch_execnz .LBB57_46
.LBB57_38:                              ;   in Loop: Header=BB57_33 Depth=1
	s_or_b32 exec_lo, exec_lo, s13
	s_and_saveexec_b32 s13, s5
	s_cbranch_execnz .LBB57_47
.LBB57_39:                              ;   in Loop: Header=BB57_33 Depth=1
	s_or_b32 exec_lo, exec_lo, s13
	s_and_saveexec_b32 s13, s6
	s_cbranch_execnz .LBB57_48
.LBB57_40:                              ;   in Loop: Header=BB57_33 Depth=1
	s_or_b32 exec_lo, exec_lo, s13
	v_ashrrev_i32_e32 v11, 31, v10
	s_and_saveexec_b32 s13, s7
	s_cbranch_execnz .LBB57_49
.LBB57_41:                              ;   in Loop: Header=BB57_33 Depth=1
	s_or_b32 exec_lo, exec_lo, s13
	s_and_saveexec_b32 s7, vcc_lo
	s_cbranch_execz .LBB57_32
	s_branch .LBB57_50
.LBB57_42:                              ;   in Loop: Header=BB57_33 Depth=1
	ds_load_b32 v2, v3 offset:8192
	s_wait_dscnt 0x0
	v_add_nc_u32_e32 v10, v2, v10
	s_or_b32 exec_lo, exec_lo, s13
	s_and_saveexec_b32 s13, s1
	s_cbranch_execz .LBB57_35
.LBB57_43:                              ;   in Loop: Header=BB57_33 Depth=1
	ds_load_b32 v2, v3 offset:8200
	s_wait_dscnt 0x0
	v_add_nc_u32_e32 v10, v10, v2
	s_or_b32 exec_lo, exec_lo, s13
	s_and_saveexec_b32 s13, s2
	s_cbranch_execz .LBB57_36
.LBB57_44:                              ;   in Loop: Header=BB57_33 Depth=1
	ds_load_b32 v2, v3 offset:8208
	s_wait_dscnt 0x0
	v_add_nc_u32_e32 v10, v10, v2
	s_or_b32 exec_lo, exec_lo, s13
	s_and_saveexec_b32 s13, s3
	s_cbranch_execz .LBB57_37
.LBB57_45:                              ;   in Loop: Header=BB57_33 Depth=1
	ds_load_b32 v2, v3 offset:8216
	s_wait_dscnt 0x0
	v_add_nc_u32_e32 v10, v10, v2
	s_or_b32 exec_lo, exec_lo, s13
	s_and_saveexec_b32 s13, s4
	s_cbranch_execz .LBB57_38
.LBB57_46:                              ;   in Loop: Header=BB57_33 Depth=1
	ds_load_b32 v2, v3 offset:8224
	s_wait_dscnt 0x0
	v_add_nc_u32_e32 v10, v10, v2
	s_or_b32 exec_lo, exec_lo, s13
	s_and_saveexec_b32 s13, s5
	s_cbranch_execz .LBB57_39
.LBB57_47:                              ;   in Loop: Header=BB57_33 Depth=1
	ds_load_b32 v2, v3 offset:8232
	s_wait_dscnt 0x0
	v_add_nc_u32_e32 v10, v10, v2
	s_or_b32 exec_lo, exec_lo, s13
	s_and_saveexec_b32 s13, s6
	s_cbranch_execz .LBB57_40
.LBB57_48:                              ;   in Loop: Header=BB57_33 Depth=1
	ds_load_b32 v2, v3 offset:8240
	s_wait_dscnt 0x0
	v_add_nc_u32_e32 v10, v10, v2
	s_or_b32 exec_lo, exec_lo, s13
	s_delay_alu instid0(VALU_DEP_1)
	v_ashrrev_i32_e32 v11, 31, v10
	s_and_saveexec_b32 s13, s7
	s_cbranch_execz .LBB57_41
.LBB57_49:                              ;   in Loop: Header=BB57_33 Depth=1
	v_lshlrev_b32_e32 v2, 3, v6
	v_lshlrev_b32_e32 v5, 3, v10
	s_delay_alu instid0(VALU_DEP_2) | instskip(NEXT) | instid1(VALU_DEP_1)
	v_add_nc_u32_e32 v2, 0, v2
	v_add3_u32 v2, v2, v5, -8
	ds_store_b64 v2, v[8:9]
	s_or_b32 exec_lo, exec_lo, s13
	s_and_saveexec_b32 s7, vcc_lo
	s_cbranch_execz .LBB57_32
.LBB57_50:                              ;   in Loop: Header=BB57_33 Depth=1
	ds_store_b64 v3, v[10:11] offset:8248
	s_branch .LBB57_32
.LBB57_51:
	s_or_b32 exec_lo, exec_lo, s12
	s_wait_kmcnt 0x0
	s_lshl_b64 s[0:1], s[10:11], 3
	v_mov_b32_e32 v1, 0
	s_add_nc_u64 s[4:5], s[30:31], s[0:1]
	s_mov_b32 s6, exec_lo
	s_load_b128 s[0:3], s[4:5], 0x0
	s_wait_kmcnt 0x0
	s_sub_nc_u64 s[4:5], s[2:3], s[0:1]
	s_delay_alu instid0(SALU_CYCLE_1)
	v_cmpx_gt_i64_e64 s[4:5], v[0:1]
	s_cbranch_execz .LBB57_61
; %bb.52:
	s_sub_nc_u64 s[8:9], s[0:1], s[2:3]
	s_and_b64 s[6:7], s[4:5], 7
	v_cmp_lt_u64_e64 s10, s[8:9], -7
	s_and_b64 s[2:3], s[4:5], -8
	s_mov_b32 s27, 0
	s_cmp_lg_u64 s[6:7], 0
	s_sub_nc_u64 s[0:1], s[0:1], s[26:27]
	s_cselect_b32 s11, -1, 0
	s_mov_b32 s12, s27
	s_branch .LBB57_54
.LBB57_53:                              ;   in Loop: Header=BB57_54 Depth=1
	v_add_nc_u64_e32 v[0:1], 0x200, v[0:1]
	s_wait_dscnt 0x0
	v_add_nc_u64_e32 v[2:3], s[26:27], v[2:3]
	s_delay_alu instid0(VALU_DEP_3) | instskip(NEXT) | instid1(VALU_DEP_3)
	v_lshl_add_u64 v[4:5], v[4:5], 3, s[34:35]
	v_cmp_le_i64_e32 vcc_lo, s[4:5], v[0:1]
	global_store_b64 v[4:5], v[2:3], off
	s_or_b32 s12, vcc_lo, s12
	s_wait_xcnt 0x0
	s_and_not1_b32 exec_lo, exec_lo, s12
	s_cbranch_execz .LBB57_61
.LBB57_54:                              ; =>This Loop Header: Depth=1
                                        ;     Child Loop BB57_56 Depth 2
                                        ;     Child Loop BB57_60 Depth 2
	v_lshl_add_u32 v2, v0, 3, 0
	v_mov_b64_e32 v[4:5], s[0:1]
	s_and_not1_b32 vcc_lo, exec_lo, s10
	s_mov_b64 s[8:9], 0
	ds_load_b64 v[2:3], v2
	s_cbranch_vccnz .LBB57_58
; %bb.55:                               ;   in Loop: Header=BB57_54 Depth=1
	v_mov_b64_e32 v[4:5], s[0:1]
	s_mov_b32 s13, 0
.LBB57_56:                              ;   Parent Loop BB57_54 Depth=1
                                        ; =>  This Inner Loop Header: Depth=2
	s_delay_alu instid0(SALU_CYCLE_1)
	v_dual_mov_b32 v18, s13 :: v_dual_mov_b32 v15, s27
	v_mov_b32_e32 v17, s27
	s_add_nc_u64 s[8:9], s[8:9], 8
	s_add_co_i32 s13, s13, 64
	ds_load_2addr_b64 v[6:9], v18 offset1:1
	ds_load_2addr_b64 v[10:13], v18 offset0:2 offset1:3
	s_cmp_eq_u64 s[2:3], s[8:9]
	s_wait_dscnt 0x1
	v_cmp_gt_i64_e32 vcc_lo, v[2:3], v[6:7]
	v_cndmask_b32_e64 v14, 0, 1, vcc_lo
	v_cmp_gt_i64_e32 vcc_lo, v[2:3], v[8:9]
	s_delay_alu instid0(VALU_DEP_2) | instskip(SKIP_4) | instid1(VALU_DEP_2)
	v_add_nc_u64_e32 v[8:9], v[4:5], v[14:15]
	ds_load_2addr_b64 v[4:7], v18 offset0:4 offset1:5
	v_cndmask_b32_e64 v16, 0, 1, vcc_lo
	s_wait_dscnt 0x1
	v_cmp_gt_i64_e32 vcc_lo, v[2:3], v[10:11]
	v_add_nc_u64_e32 v[8:9], v[8:9], v[16:17]
	v_cndmask_b32_e64 v14, 0, 1, vcc_lo
	v_cmp_gt_i64_e32 vcc_lo, v[2:3], v[12:13]
	s_delay_alu instid0(VALU_DEP_2)
	v_add_nc_u64_e32 v[12:13], v[8:9], v[14:15]
	ds_load_2addr_b64 v[8:11], v18 offset0:6 offset1:7
	v_cndmask_b32_e64 v16, 0, 1, vcc_lo
	s_wait_dscnt 0x1
	v_cmp_gt_i64_e32 vcc_lo, v[2:3], v[4:5]
	v_mov_b32_e32 v5, s27
	s_delay_alu instid0(VALU_DEP_3) | instskip(SKIP_3) | instid1(VALU_DEP_3)
	v_add_nc_u64_e32 v[12:13], v[12:13], v[16:17]
	v_cndmask_b32_e64 v14, 0, 1, vcc_lo
	v_cmp_gt_i64_e32 vcc_lo, v[2:3], v[6:7]
	v_mov_b32_e32 v7, s27
	v_add_nc_u64_e32 v[12:13], v[12:13], v[14:15]
	v_cndmask_b32_e64 v4, 0, 1, vcc_lo
	s_wait_dscnt 0x0
	v_cmp_gt_i64_e32 vcc_lo, v[2:3], v[8:9]
	v_mov_b32_e32 v9, s27
	s_delay_alu instid0(VALU_DEP_3) | instskip(SKIP_2) | instid1(VALU_DEP_2)
	v_add_nc_u64_e32 v[4:5], v[12:13], v[4:5]
	v_cndmask_b32_e64 v6, 0, 1, vcc_lo
	v_cmp_gt_i64_e32 vcc_lo, v[2:3], v[10:11]
	v_add_nc_u64_e32 v[4:5], v[4:5], v[6:7]
	v_cndmask_b32_e64 v8, 0, 1, vcc_lo
	s_delay_alu instid0(VALU_DEP_1)
	v_add_nc_u64_e32 v[4:5], v[4:5], v[8:9]
	s_cbranch_scc0 .LBB57_56
; %bb.57:                               ;   in Loop: Header=BB57_54 Depth=1
	s_mov_b64 s[8:9], s[2:3]
.LBB57_58:                              ;   in Loop: Header=BB57_54 Depth=1
	s_and_not1_b32 vcc_lo, exec_lo, s11
	s_cbranch_vccnz .LBB57_53
; %bb.59:                               ;   in Loop: Header=BB57_54 Depth=1
	s_lshl_b32 s8, s8, 3
	s_delay_alu instid0(SALU_CYCLE_1)
	s_add_co_i32 s13, s8, 0
	s_mov_b64 s[8:9], s[6:7]
.LBB57_60:                              ;   Parent Loop BB57_54 Depth=1
                                        ; =>  This Inner Loop Header: Depth=2
	v_dual_mov_b32 v6, s13 :: v_dual_mov_b32 v9, s27
	s_add_nc_u64 s[8:9], s[8:9], -1
	s_add_co_i32 s13, s13, 8
	s_cmp_lg_u64 s[8:9], 0
	ds_load_b64 v[6:7], v6
	s_wait_dscnt 0x0
	v_cmp_gt_i64_e32 vcc_lo, v[2:3], v[6:7]
	v_cndmask_b32_e64 v8, 0, 1, vcc_lo
	s_delay_alu instid0(VALU_DEP_1)
	v_add_nc_u64_e32 v[4:5], v[4:5], v[8:9]
	s_cbranch_scc1 .LBB57_60
	s_branch .LBB57_53
.LBB57_61:
	s_endpgm
	.section	.rodata,"a",@progbits
	.p2align	6, 0x0
	.amdhsa_kernel _ZN9rocsparseL35csrgemm_symbolic_fill_block_per_rowILj512ELj32ELj1024ELj137ELj64EllEEvT5_PKS1_S3_PKT4_S3_S6_S3_S6_S3_S6_PS1_21rocsparse_index_base_S8_S8_S8_bb
		.amdhsa_group_segment_fixed_size 0
		.amdhsa_private_segment_fixed_size 0
		.amdhsa_kernarg_size 108
		.amdhsa_user_sgpr_count 2
		.amdhsa_user_sgpr_dispatch_ptr 0
		.amdhsa_user_sgpr_queue_ptr 0
		.amdhsa_user_sgpr_kernarg_segment_ptr 1
		.amdhsa_user_sgpr_dispatch_id 0
		.amdhsa_user_sgpr_kernarg_preload_length 0
		.amdhsa_user_sgpr_kernarg_preload_offset 0
		.amdhsa_user_sgpr_private_segment_size 0
		.amdhsa_wavefront_size32 1
		.amdhsa_uses_dynamic_stack 0
		.amdhsa_enable_private_segment 0
		.amdhsa_system_sgpr_workgroup_id_x 1
		.amdhsa_system_sgpr_workgroup_id_y 0
		.amdhsa_system_sgpr_workgroup_id_z 0
		.amdhsa_system_sgpr_workgroup_info 0
		.amdhsa_system_vgpr_workitem_id 0
		.amdhsa_next_free_vgpr 19
		.amdhsa_next_free_sgpr 37
		.amdhsa_named_barrier_count 0
		.amdhsa_reserve_vcc 1
		.amdhsa_float_round_mode_32 0
		.amdhsa_float_round_mode_16_64 0
		.amdhsa_float_denorm_mode_32 3
		.amdhsa_float_denorm_mode_16_64 3
		.amdhsa_fp16_overflow 0
		.amdhsa_memory_ordered 1
		.amdhsa_forward_progress 1
		.amdhsa_inst_pref_size 19
		.amdhsa_round_robin_scheduling 0
		.amdhsa_exception_fp_ieee_invalid_op 0
		.amdhsa_exception_fp_denorm_src 0
		.amdhsa_exception_fp_ieee_div_zero 0
		.amdhsa_exception_fp_ieee_overflow 0
		.amdhsa_exception_fp_ieee_underflow 0
		.amdhsa_exception_fp_ieee_inexact 0
		.amdhsa_exception_int_div_zero 0
	.end_amdhsa_kernel
	.section	.text._ZN9rocsparseL35csrgemm_symbolic_fill_block_per_rowILj512ELj32ELj1024ELj137ELj64EllEEvT5_PKS1_S3_PKT4_S3_S6_S3_S6_S3_S6_PS1_21rocsparse_index_base_S8_S8_S8_bb,"axG",@progbits,_ZN9rocsparseL35csrgemm_symbolic_fill_block_per_rowILj512ELj32ELj1024ELj137ELj64EllEEvT5_PKS1_S3_PKT4_S3_S6_S3_S6_S3_S6_PS1_21rocsparse_index_base_S8_S8_S8_bb,comdat
.Lfunc_end57:
	.size	_ZN9rocsparseL35csrgemm_symbolic_fill_block_per_rowILj512ELj32ELj1024ELj137ELj64EllEEvT5_PKS1_S3_PKT4_S3_S6_S3_S6_S3_S6_PS1_21rocsparse_index_base_S8_S8_S8_bb, .Lfunc_end57-_ZN9rocsparseL35csrgemm_symbolic_fill_block_per_rowILj512ELj32ELj1024ELj137ELj64EllEEvT5_PKS1_S3_PKT4_S3_S6_S3_S6_S3_S6_PS1_21rocsparse_index_base_S8_S8_S8_bb
                                        ; -- End function
	.set _ZN9rocsparseL35csrgemm_symbolic_fill_block_per_rowILj512ELj32ELj1024ELj137ELj64EllEEvT5_PKS1_S3_PKT4_S3_S6_S3_S6_S3_S6_PS1_21rocsparse_index_base_S8_S8_S8_bb.num_vgpr, 19
	.set _ZN9rocsparseL35csrgemm_symbolic_fill_block_per_rowILj512ELj32ELj1024ELj137ELj64EllEEvT5_PKS1_S3_PKT4_S3_S6_S3_S6_S3_S6_PS1_21rocsparse_index_base_S8_S8_S8_bb.num_agpr, 0
	.set _ZN9rocsparseL35csrgemm_symbolic_fill_block_per_rowILj512ELj32ELj1024ELj137ELj64EllEEvT5_PKS1_S3_PKT4_S3_S6_S3_S6_S3_S6_PS1_21rocsparse_index_base_S8_S8_S8_bb.numbered_sgpr, 37
	.set _ZN9rocsparseL35csrgemm_symbolic_fill_block_per_rowILj512ELj32ELj1024ELj137ELj64EllEEvT5_PKS1_S3_PKT4_S3_S6_S3_S6_S3_S6_PS1_21rocsparse_index_base_S8_S8_S8_bb.num_named_barrier, 0
	.set _ZN9rocsparseL35csrgemm_symbolic_fill_block_per_rowILj512ELj32ELj1024ELj137ELj64EllEEvT5_PKS1_S3_PKT4_S3_S6_S3_S6_S3_S6_PS1_21rocsparse_index_base_S8_S8_S8_bb.private_seg_size, 0
	.set _ZN9rocsparseL35csrgemm_symbolic_fill_block_per_rowILj512ELj32ELj1024ELj137ELj64EllEEvT5_PKS1_S3_PKT4_S3_S6_S3_S6_S3_S6_PS1_21rocsparse_index_base_S8_S8_S8_bb.uses_vcc, 1
	.set _ZN9rocsparseL35csrgemm_symbolic_fill_block_per_rowILj512ELj32ELj1024ELj137ELj64EllEEvT5_PKS1_S3_PKT4_S3_S6_S3_S6_S3_S6_PS1_21rocsparse_index_base_S8_S8_S8_bb.uses_flat_scratch, 0
	.set _ZN9rocsparseL35csrgemm_symbolic_fill_block_per_rowILj512ELj32ELj1024ELj137ELj64EllEEvT5_PKS1_S3_PKT4_S3_S6_S3_S6_S3_S6_PS1_21rocsparse_index_base_S8_S8_S8_bb.has_dyn_sized_stack, 0
	.set _ZN9rocsparseL35csrgemm_symbolic_fill_block_per_rowILj512ELj32ELj1024ELj137ELj64EllEEvT5_PKS1_S3_PKT4_S3_S6_S3_S6_S3_S6_PS1_21rocsparse_index_base_S8_S8_S8_bb.has_recursion, 0
	.set _ZN9rocsparseL35csrgemm_symbolic_fill_block_per_rowILj512ELj32ELj1024ELj137ELj64EllEEvT5_PKS1_S3_PKT4_S3_S6_S3_S6_S3_S6_PS1_21rocsparse_index_base_S8_S8_S8_bb.has_indirect_call, 0
	.section	.AMDGPU.csdata,"",@progbits
; Kernel info:
; codeLenInByte = 2340
; TotalNumSgprs: 39
; NumVgprs: 19
; ScratchSize: 0
; MemoryBound: 0
; FloatMode: 240
; IeeeMode: 1
; LDSByteSize: 0 bytes/workgroup (compile time only)
; SGPRBlocks: 0
; VGPRBlocks: 1
; NumSGPRsForWavesPerEU: 39
; NumVGPRsForWavesPerEU: 19
; NamedBarCnt: 0
; Occupancy: 16
; WaveLimiterHint : 1
; COMPUTE_PGM_RSRC2:SCRATCH_EN: 0
; COMPUTE_PGM_RSRC2:USER_SGPR: 2
; COMPUTE_PGM_RSRC2:TRAP_HANDLER: 0
; COMPUTE_PGM_RSRC2:TGID_X_EN: 1
; COMPUTE_PGM_RSRC2:TGID_Y_EN: 0
; COMPUTE_PGM_RSRC2:TGID_Z_EN: 0
; COMPUTE_PGM_RSRC2:TIDIG_COMP_CNT: 0
	.section	.text._ZN9rocsparseL35csrgemm_symbolic_fill_block_per_rowILj1024ELj32ELj2048ELj137ELj32EllEEvT5_PKS1_S3_PKT4_S3_S6_S3_S6_S3_S6_PS1_21rocsparse_index_base_S8_S8_S8_bb,"axG",@progbits,_ZN9rocsparseL35csrgemm_symbolic_fill_block_per_rowILj1024ELj32ELj2048ELj137ELj32EllEEvT5_PKS1_S3_PKT4_S3_S6_S3_S6_S3_S6_PS1_21rocsparse_index_base_S8_S8_S8_bb,comdat
	.globl	_ZN9rocsparseL35csrgemm_symbolic_fill_block_per_rowILj1024ELj32ELj2048ELj137ELj32EllEEvT5_PKS1_S3_PKT4_S3_S6_S3_S6_S3_S6_PS1_21rocsparse_index_base_S8_S8_S8_bb ; -- Begin function _ZN9rocsparseL35csrgemm_symbolic_fill_block_per_rowILj1024ELj32ELj2048ELj137ELj32EllEEvT5_PKS1_S3_PKT4_S3_S6_S3_S6_S3_S6_PS1_21rocsparse_index_base_S8_S8_S8_bb
	.p2align	8
	.type	_ZN9rocsparseL35csrgemm_symbolic_fill_block_per_rowILj1024ELj32ELj2048ELj137ELj32EllEEvT5_PKS1_S3_PKT4_S3_S6_S3_S6_S3_S6_PS1_21rocsparse_index_base_S8_S8_S8_bb,@function
_ZN9rocsparseL35csrgemm_symbolic_fill_block_per_rowILj1024ELj32ELj2048ELj137ELj32EllEEvT5_PKS1_S3_PKT4_S3_S6_S3_S6_S3_S6_PS1_21rocsparse_index_base_S8_S8_S8_bb: ; @_ZN9rocsparseL35csrgemm_symbolic_fill_block_per_rowILj1024ELj32ELj2048ELj137ELj32EllEEvT5_PKS1_S3_PKT4_S3_S6_S3_S6_S3_S6_PS1_21rocsparse_index_base_S8_S8_S8_bb
; %bb.0:
	s_clause 0x3
	s_load_b256 s[36:43], s[0:1], 0x0
	s_load_b64 s[34:35], s[0:1], 0x50
	s_load_b128 s[48:51], s[0:1], 0x40
	s_load_b256 s[4:11], s[0:1], 0x20
	v_lshl_add_u32 v15, v0, 3, 0
	v_or_b32_e32 v18, 0xfffffc00, v0
	s_mov_b32 s2, 0
	s_delay_alu instid0(VALU_DEP_1)
	v_dual_mov_b32 v1, v15 :: v_dual_mov_b32 v4, v18
	s_wait_kmcnt 0x0
	v_mov_b64_e32 v[2:3], s[36:37]
.LBB58_1:                               ; =>This Inner Loop Header: Depth=1
	s_delay_alu instid0(VALU_DEP_2) | instskip(SKIP_4) | instid1(SALU_CYCLE_1)
	v_add_co_u32 v4, s3, 0x400, v4
	s_xor_b32 s3, s3, -1
	ds_store_b64 v1, v[2:3]
	v_add_nc_u32_e32 v1, 0x2000, v1
	s_and_b32 s3, exec_lo, s3
	s_or_b32 s2, s3, s2
	s_delay_alu instid0(SALU_CYCLE_1)
	s_and_not1_b32 exec_lo, exec_lo, s2
	s_cbranch_execnz .LBB58_1
; %bb.2:
	s_or_b32 exec_lo, exec_lo, s2
	s_load_b32 s14, s[0:1], 0x68
	s_wait_dscnt 0x0
	s_barrier_signal -1
	s_barrier_wait -1
	s_load_b64 s[2:3], s[38:39], 0x0
	s_getreg_b32 s16, hwreg(HW_REG_IB_STS2, 6, 4)
	v_lshrrev_b32_e32 v2, 5, v0
	s_wait_kmcnt 0x0
	s_bitcmp1_b32 s14, 0
	s_cselect_b32 s12, -1, 0
	s_bfe_u32 s13, ttmp6, 0x4000c
	s_and_b32 s15, ttmp6, 15
	s_add_co_i32 s13, s13, 1
	s_lshl_b64 s[2:3], s[2:3], 3
	s_mul_i32 s13, ttmp9, s13
	s_add_nc_u64 s[2:3], s[40:41], s[2:3]
	s_add_co_i32 s15, s15, s13
	s_cmp_eq_u32 s16, 0
	s_cselect_b32 s13, ttmp9, s15
	s_load_b128 s[44:47], s[0:1], 0x58
	s_load_b64 s[38:39], s[2:3], s13 offset:0x0 scale_offset
	s_and_b32 vcc_lo, exec_lo, s12
	s_wait_xcnt 0x0
	s_mov_b32 s1, 0
	s_cbranch_vccz .LBB58_18
; %bb.3:
	s_wait_kmcnt 0x0
	s_lshl_b64 s[2:3], s[38:39], 3
	v_mov_b32_e32 v3, 0
	s_add_nc_u64 s[2:3], s[42:43], s[2:3]
	s_mov_b32 s0, s44
	s_load_b128 s[16:19], s[2:3], 0x0
	s_mov_b32 s15, exec_lo
	v_sub_nc_u64_e64 v[4:5], v[2:3], s[0:1]
	s_wait_kmcnt 0x0
	s_delay_alu instid0(VALU_DEP_1)
	v_add_nc_u64_e32 v[4:5], s[16:17], v[4:5]
	s_sub_nc_u64 s[2:3], s[18:19], s[0:1]
	s_delay_alu instid0(VALU_DEP_1) | instid1(SALU_CYCLE_1)
	v_cmpx_gt_i64_e64 s[2:3], v[4:5]
	s_cbranch_execz .LBB58_17
; %bb.4:
	v_dual_mov_b32 v7, v3 :: v_dual_bitop2_b32 v6, 31, v0 bitop3:0x40
	s_mov_b32 s13, 0
	s_mov_b32 s12, s45
	;; [unrolled: 1-line block ×3, first 2 shown]
	s_delay_alu instid0(VALU_DEP_1)
	v_sub_nc_u64_e64 v[6:7], v[6:7], s[12:13]
	s_branch .LBB58_6
.LBB58_5:                               ;   in Loop: Header=BB58_6 Depth=1
	s_or_b32 exec_lo, exec_lo, s17
	v_add_nc_u64_e32 v[4:5], 32, v[4:5]
	s_delay_alu instid0(VALU_DEP_1) | instskip(SKIP_1) | instid1(SALU_CYCLE_1)
	v_cmp_le_i64_e32 vcc_lo, s[2:3], v[4:5]
	s_or_b32 s16, vcc_lo, s16
	s_and_not1_b32 exec_lo, exec_lo, s16
	s_cbranch_execz .LBB58_17
.LBB58_6:                               ; =>This Loop Header: Depth=1
                                        ;     Child Loop BB58_9 Depth 2
                                        ;       Child Loop BB58_12 Depth 3
	v_lshl_add_u64 v[8:9], v[4:5], 3, s[4:5]
	s_mov_b32 s17, exec_lo
	global_load_b64 v[8:9], v[8:9], off
	s_wait_loadcnt 0x0
	v_sub_nc_u64_e64 v[8:9], v[8:9], s[0:1]
	s_delay_alu instid0(VALU_DEP_1) | instskip(SKIP_4) | instid1(VALU_DEP_1)
	v_lshl_add_u64 v[8:9], v[8:9], 3, s[6:7]
	global_load_b128 v[10:13], v[8:9], off
	s_wait_loadcnt 0x0
	v_sub_nc_u64_e64 v[8:9], v[12:13], s[12:13]
	v_add_nc_u64_e32 v[10:11], v[10:11], v[6:7]
	v_cmpx_lt_i64_e64 v[10:11], v[8:9]
	s_cbranch_execz .LBB58_5
; %bb.7:                                ;   in Loop: Header=BB58_6 Depth=1
	s_mov_b32 s18, 0
	s_branch .LBB58_9
.LBB58_8:                               ;   in Loop: Header=BB58_9 Depth=2
	s_or_b32 exec_lo, exec_lo, s19
	v_add_nc_u64_e32 v[10:11], 32, v[10:11]
	s_delay_alu instid0(VALU_DEP_1) | instskip(SKIP_1) | instid1(SALU_CYCLE_1)
	v_cmp_ge_i64_e32 vcc_lo, v[10:11], v[8:9]
	s_or_b32 s18, vcc_lo, s18
	s_and_not1_b32 exec_lo, exec_lo, s18
	s_cbranch_execz .LBB58_5
.LBB58_9:                               ;   Parent Loop BB58_6 Depth=1
                                        ; =>  This Loop Header: Depth=2
                                        ;       Child Loop BB58_12 Depth 3
	v_lshl_add_u64 v[12:13], v[10:11], 3, s[8:9]
	s_mov_b32 s19, 0
                                        ; implicit-def: $sgpr20
	global_load_b64 v[12:13], v[12:13], off
	s_wait_loadcnt 0x0
	v_sub_nc_u64_e64 v[12:13], v[12:13], s[12:13]
	s_delay_alu instid0(VALU_DEP_1) | instskip(NEXT) | instid1(VALU_DEP_1)
	v_mul_lo_u32 v1, 0x89, v12
	v_and_b32_e32 v14, 0x7ff, v1
	s_branch .LBB58_12
.LBB58_10:                              ;   in Loop: Header=BB58_12 Depth=3
	s_or_b32 exec_lo, exec_lo, s22
	s_delay_alu instid0(SALU_CYCLE_1) | instskip(SKIP_1) | instid1(SALU_CYCLE_1)
	s_and_not1_b32 s20, s20, exec_lo
	s_and_b32 s22, s23, exec_lo
	s_or_b32 s20, s20, s22
.LBB58_11:                              ;   in Loop: Header=BB58_12 Depth=3
	s_or_b32 exec_lo, exec_lo, s21
	s_xor_b32 s21, s20, -1
	s_delay_alu instid0(SALU_CYCLE_1) | instskip(NEXT) | instid1(SALU_CYCLE_1)
	s_and_b32 s21, exec_lo, s21
	s_or_b32 s19, s21, s19
	s_delay_alu instid0(SALU_CYCLE_1)
	s_and_not1_b32 exec_lo, exec_lo, s19
	s_cbranch_execz .LBB58_8
.LBB58_12:                              ;   Parent Loop BB58_6 Depth=1
                                        ;     Parent Loop BB58_9 Depth=2
                                        ; =>    This Inner Loop Header: Depth=3
	s_delay_alu instid0(VALU_DEP_1)
	v_lshl_add_u32 v1, v14, 3, 0
	s_and_not1_b32 s20, s20, exec_lo
	s_mov_b32 s21, exec_lo
	ds_load_b64 v[16:17], v1
	s_wait_dscnt 0x0
	v_cmpx_ne_u64_e64 v[16:17], v[12:13]
	s_cbranch_execz .LBB58_11
; %bb.13:                               ;   in Loop: Header=BB58_12 Depth=3
	s_mov_b32 s22, exec_lo
	v_cmpx_ne_u64_e64 s[36:37], v[16:17]
	s_xor_b32 s22, exec_lo, s22
; %bb.14:                               ;   in Loop: Header=BB58_12 Depth=3
	v_add_nc_u32_e32 v1, 1, v14
	s_delay_alu instid0(VALU_DEP_1)
	v_and_b32_e32 v14, 0x7ff, v1
                                        ; implicit-def: $vgpr1
; %bb.15:                               ;   in Loop: Header=BB58_12 Depth=3
	s_or_saveexec_b32 s22, s22
	s_mov_b32 s23, -1
	s_xor_b32 exec_lo, exec_lo, s22
	s_cbranch_execz .LBB58_10
; %bb.16:                               ;   in Loop: Header=BB58_12 Depth=3
	v_mov_b64_e32 v[16:17], s[36:37]
	ds_cmpstore_rtn_b64 v[16:17], v1, v[12:13], v[16:17]
	s_wait_dscnt 0x0
	v_cmp_ne_u64_e32 vcc_lo, s[36:37], v[16:17]
	s_or_not1_b32 s23, vcc_lo, exec_lo
	s_branch .LBB58_10
.LBB58_17:
	s_or_b32 exec_lo, exec_lo, s15
.LBB58_18:
	s_bfe_u32 s0, s14, 0x10008
	s_delay_alu instid0(SALU_CYCLE_1)
	s_cmp_eq_u32 s0, 0
	s_cbranch_scc1 .LBB58_31
; %bb.19:
	s_wait_kmcnt 0x0
	s_lshl_b64 s[0:1], s[38:39], 3
	v_mov_b32_e32 v1, 0
	s_add_nc_u64 s[0:1], s[10:11], s[0:1]
	s_load_b128 s[4:7], s[0:1], 0x0
	s_wait_xcnt 0x0
	s_mov_b32 s1, 0
	s_mov_b32 s0, s47
	s_delay_alu instid0(SALU_CYCLE_1) | instskip(SKIP_1) | instid1(VALU_DEP_1)
	v_sub_nc_u64_e64 v[4:5], v[0:1], s[0:1]
	s_wait_kmcnt 0x0
	v_add_nc_u64_e32 v[4:5], s[4:5], v[4:5]
	s_sub_nc_u64 s[2:3], s[6:7], s[0:1]
	s_mov_b32 s4, exec_lo
	s_delay_alu instid0(VALU_DEP_1)
	v_cmpx_gt_i64_e64 s[2:3], v[4:5]
	s_cbranch_execz .LBB58_30
; %bb.20:
	s_mov_b32 s5, s1
	s_branch .LBB58_22
.LBB58_21:                              ;   in Loop: Header=BB58_22 Depth=1
	s_or_b32 exec_lo, exec_lo, s6
	v_add_nc_u64_e32 v[4:5], 0x400, v[4:5]
	s_delay_alu instid0(VALU_DEP_1) | instskip(SKIP_1) | instid1(SALU_CYCLE_1)
	v_cmp_le_i64_e32 vcc_lo, s[2:3], v[4:5]
	s_or_b32 s5, vcc_lo, s5
	s_and_not1_b32 exec_lo, exec_lo, s5
	s_cbranch_execz .LBB58_30
.LBB58_22:                              ; =>This Loop Header: Depth=1
                                        ;     Child Loop BB58_25 Depth 2
	v_lshl_add_u64 v[6:7], v[4:5], 3, s[48:49]
	s_mov_b32 s6, 0
                                        ; implicit-def: $sgpr7
	global_load_b64 v[6:7], v[6:7], off
	s_wait_loadcnt 0x0
	v_sub_nc_u64_e64 v[6:7], v[6:7], s[0:1]
	s_delay_alu instid0(VALU_DEP_1) | instskip(NEXT) | instid1(VALU_DEP_1)
	v_mul_lo_u32 v1, 0x89, v6
	v_and_b32_e32 v8, 0x7ff, v1
	s_branch .LBB58_25
.LBB58_23:                              ;   in Loop: Header=BB58_25 Depth=2
	s_or_b32 exec_lo, exec_lo, s9
	s_delay_alu instid0(SALU_CYCLE_1) | instskip(SKIP_1) | instid1(SALU_CYCLE_1)
	s_and_not1_b32 s7, s7, exec_lo
	s_and_b32 s9, s10, exec_lo
	s_or_b32 s7, s7, s9
.LBB58_24:                              ;   in Loop: Header=BB58_25 Depth=2
	s_or_b32 exec_lo, exec_lo, s8
	s_xor_b32 s8, s7, -1
	s_delay_alu instid0(SALU_CYCLE_1) | instskip(NEXT) | instid1(SALU_CYCLE_1)
	s_and_b32 s8, exec_lo, s8
	s_or_b32 s6, s8, s6
	s_delay_alu instid0(SALU_CYCLE_1)
	s_and_not1_b32 exec_lo, exec_lo, s6
	s_cbranch_execz .LBB58_21
.LBB58_25:                              ;   Parent Loop BB58_22 Depth=1
                                        ; =>  This Inner Loop Header: Depth=2
	s_delay_alu instid0(VALU_DEP_1)
	v_lshl_add_u32 v1, v8, 3, 0
	s_and_not1_b32 s7, s7, exec_lo
	s_mov_b32 s8, exec_lo
	ds_load_b64 v[10:11], v1
	s_wait_dscnt 0x0
	v_cmpx_ne_u64_e64 v[10:11], v[6:7]
	s_cbranch_execz .LBB58_24
; %bb.26:                               ;   in Loop: Header=BB58_25 Depth=2
	s_mov_b32 s9, exec_lo
	v_cmpx_ne_u64_e64 s[36:37], v[10:11]
	s_xor_b32 s9, exec_lo, s9
; %bb.27:                               ;   in Loop: Header=BB58_25 Depth=2
	v_add_nc_u32_e32 v1, 1, v8
	s_delay_alu instid0(VALU_DEP_1)
	v_and_b32_e32 v8, 0x7ff, v1
                                        ; implicit-def: $vgpr1
; %bb.28:                               ;   in Loop: Header=BB58_25 Depth=2
	s_or_saveexec_b32 s9, s9
	s_mov_b32 s10, -1
	s_xor_b32 exec_lo, exec_lo, s9
	s_cbranch_execz .LBB58_23
; %bb.29:                               ;   in Loop: Header=BB58_25 Depth=2
	v_mov_b64_e32 v[10:11], s[36:37]
	ds_cmpstore_rtn_b64 v[10:11], v1, v[6:7], v[10:11]
	s_wait_dscnt 0x0
	v_cmp_ne_u64_e32 vcc_lo, s[36:37], v[10:11]
	s_or_not1_b32 s10, vcc_lo, exec_lo
	s_branch .LBB58_23
.LBB58_30:
	s_or_b32 exec_lo, exec_lo, s4
.LBB58_31:
	v_mbcnt_lo_u32_b32 v4, -1, 0
	v_mov_b32_e32 v3, 0
	v_lshl_add_u32 v1, v2, 3, 0
	v_mov_b64_e32 v[6:7], 0
	v_cmp_lt_u32_e64 s0, 31, v0
	v_xor_b32_e32 v2, 31, v4
	v_cmp_lt_u32_e64 s1, 63, v0
	v_cmp_lt_u32_e64 s2, 0x5f, v0
	;; [unrolled: 1-line block ×4, first 2 shown]
	v_lshrrev_b32_e64 v4, v2, -1
	v_cmp_lt_u32_e64 s5, 0xbf, v0
	v_cmp_lt_u32_e64 s6, 0xdf, v0
	;; [unrolled: 1-line block ×26, first 2 shown]
	s_mov_b32 s33, 0
	v_cmp_eq_u32_e32 vcc_lo, 0x3ff, v0
	s_barrier_signal -1
	s_barrier_wait -1
	s_branch .LBB58_33
.LBB58_32:                              ;   in Loop: Header=BB58_33 Depth=1
	s_or_b32 exec_lo, exec_lo, s31
	s_wait_dscnt 0x0
	s_barrier_signal -1
	s_barrier_wait -1
	ds_load_b64 v[8:9], v3 offset:16632
	v_add_co_u32 v18, s31, 0x400, v18
	s_xor_b32 s31, s31, -1
	v_add_nc_u32_e32 v15, 0x2000, v15
	s_and_b32 s31, exec_lo, s31
	s_delay_alu instid0(SALU_CYCLE_1)
	s_or_b32 s33, s31, s33
	s_wait_dscnt 0x0
	v_add_nc_u64_e32 v[6:7], v[8:9], v[6:7]
	s_and_not1_b32 exec_lo, exec_lo, s33
	s_cbranch_execz .LBB58_99
.LBB58_33:                              ; =>This Inner Loop Header: Depth=1
	ds_load_b64 v[8:9], v15
	s_wait_dscnt 0x0
	s_barrier_signal -1
	s_barrier_wait -1
	v_cmp_gt_i64_e64 s31, s[36:37], v[8:9]
	s_bcnt1_i32_b32 s40, s31
	s_delay_alu instid0(SALU_CYCLE_1) | instskip(NEXT) | instid1(VALU_DEP_1)
	v_dual_mov_b32 v2, s40 :: v_dual_bitop2_b32 v5, s31, v4 bitop3:0x40
	v_bcnt_u32_b32 v10, v5, 0
	ds_store_b64 v1, v[2:3] offset:16384
	s_wait_dscnt 0x0
	s_barrier_signal -1
	s_barrier_wait -1
	s_and_saveexec_b32 s40, s0
	s_cbranch_execnz .LBB58_66
; %bb.34:                               ;   in Loop: Header=BB58_33 Depth=1
	s_or_b32 exec_lo, exec_lo, s40
	s_and_saveexec_b32 s40, s1
	s_cbranch_execnz .LBB58_67
.LBB58_35:                              ;   in Loop: Header=BB58_33 Depth=1
	s_or_b32 exec_lo, exec_lo, s40
	s_and_saveexec_b32 s40, s2
	s_cbranch_execnz .LBB58_68
.LBB58_36:                              ;   in Loop: Header=BB58_33 Depth=1
	s_or_b32 exec_lo, exec_lo, s40
	s_and_saveexec_b32 s40, s3
	s_cbranch_execnz .LBB58_69
.LBB58_37:                              ;   in Loop: Header=BB58_33 Depth=1
	s_or_b32 exec_lo, exec_lo, s40
	s_and_saveexec_b32 s40, s4
	s_cbranch_execnz .LBB58_70
.LBB58_38:                              ;   in Loop: Header=BB58_33 Depth=1
	s_or_b32 exec_lo, exec_lo, s40
	s_and_saveexec_b32 s40, s5
	s_cbranch_execnz .LBB58_71
.LBB58_39:                              ;   in Loop: Header=BB58_33 Depth=1
	s_or_b32 exec_lo, exec_lo, s40
	s_and_saveexec_b32 s40, s6
	s_cbranch_execnz .LBB58_72
.LBB58_40:                              ;   in Loop: Header=BB58_33 Depth=1
	s_or_b32 exec_lo, exec_lo, s40
	s_and_saveexec_b32 s40, s7
	s_cbranch_execnz .LBB58_73
.LBB58_41:                              ;   in Loop: Header=BB58_33 Depth=1
	s_or_b32 exec_lo, exec_lo, s40
	s_and_saveexec_b32 s40, s8
	s_cbranch_execnz .LBB58_74
.LBB58_42:                              ;   in Loop: Header=BB58_33 Depth=1
	s_or_b32 exec_lo, exec_lo, s40
	s_and_saveexec_b32 s40, s9
	s_cbranch_execnz .LBB58_75
.LBB58_43:                              ;   in Loop: Header=BB58_33 Depth=1
	s_or_b32 exec_lo, exec_lo, s40
	s_and_saveexec_b32 s40, s10
	s_cbranch_execnz .LBB58_76
.LBB58_44:                              ;   in Loop: Header=BB58_33 Depth=1
	s_or_b32 exec_lo, exec_lo, s40
	s_and_saveexec_b32 s40, s11
	s_cbranch_execnz .LBB58_77
.LBB58_45:                              ;   in Loop: Header=BB58_33 Depth=1
	s_or_b32 exec_lo, exec_lo, s40
	s_and_saveexec_b32 s40, s12
	s_cbranch_execnz .LBB58_78
.LBB58_46:                              ;   in Loop: Header=BB58_33 Depth=1
	s_or_b32 exec_lo, exec_lo, s40
	s_and_saveexec_b32 s40, s13
	s_cbranch_execnz .LBB58_79
.LBB58_47:                              ;   in Loop: Header=BB58_33 Depth=1
	s_or_b32 exec_lo, exec_lo, s40
	s_and_saveexec_b32 s40, s14
	s_cbranch_execnz .LBB58_80
.LBB58_48:                              ;   in Loop: Header=BB58_33 Depth=1
	s_or_b32 exec_lo, exec_lo, s40
	s_and_saveexec_b32 s40, s15
	s_cbranch_execnz .LBB58_81
.LBB58_49:                              ;   in Loop: Header=BB58_33 Depth=1
	s_or_b32 exec_lo, exec_lo, s40
	s_and_saveexec_b32 s40, s16
	s_cbranch_execnz .LBB58_82
.LBB58_50:                              ;   in Loop: Header=BB58_33 Depth=1
	s_or_b32 exec_lo, exec_lo, s40
	s_and_saveexec_b32 s40, s17
	s_cbranch_execnz .LBB58_83
.LBB58_51:                              ;   in Loop: Header=BB58_33 Depth=1
	s_or_b32 exec_lo, exec_lo, s40
	s_and_saveexec_b32 s40, s18
	s_cbranch_execnz .LBB58_84
.LBB58_52:                              ;   in Loop: Header=BB58_33 Depth=1
	s_or_b32 exec_lo, exec_lo, s40
	s_and_saveexec_b32 s40, s19
	s_cbranch_execnz .LBB58_85
.LBB58_53:                              ;   in Loop: Header=BB58_33 Depth=1
	s_or_b32 exec_lo, exec_lo, s40
	s_and_saveexec_b32 s40, s20
	s_cbranch_execnz .LBB58_86
.LBB58_54:                              ;   in Loop: Header=BB58_33 Depth=1
	s_or_b32 exec_lo, exec_lo, s40
	s_and_saveexec_b32 s40, s21
	s_cbranch_execnz .LBB58_87
.LBB58_55:                              ;   in Loop: Header=BB58_33 Depth=1
	s_or_b32 exec_lo, exec_lo, s40
	s_and_saveexec_b32 s40, s22
	s_cbranch_execnz .LBB58_88
.LBB58_56:                              ;   in Loop: Header=BB58_33 Depth=1
	s_or_b32 exec_lo, exec_lo, s40
	s_and_saveexec_b32 s40, s23
	s_cbranch_execnz .LBB58_89
.LBB58_57:                              ;   in Loop: Header=BB58_33 Depth=1
	s_or_b32 exec_lo, exec_lo, s40
	s_and_saveexec_b32 s40, s24
	s_cbranch_execnz .LBB58_90
.LBB58_58:                              ;   in Loop: Header=BB58_33 Depth=1
	s_or_b32 exec_lo, exec_lo, s40
	s_and_saveexec_b32 s40, s25
	s_cbranch_execnz .LBB58_91
.LBB58_59:                              ;   in Loop: Header=BB58_33 Depth=1
	s_or_b32 exec_lo, exec_lo, s40
	s_and_saveexec_b32 s40, s26
	s_cbranch_execnz .LBB58_92
.LBB58_60:                              ;   in Loop: Header=BB58_33 Depth=1
	s_or_b32 exec_lo, exec_lo, s40
	s_and_saveexec_b32 s40, s27
	s_cbranch_execnz .LBB58_93
.LBB58_61:                              ;   in Loop: Header=BB58_33 Depth=1
	s_or_b32 exec_lo, exec_lo, s40
	s_and_saveexec_b32 s40, s28
	s_cbranch_execnz .LBB58_94
.LBB58_62:                              ;   in Loop: Header=BB58_33 Depth=1
	s_or_b32 exec_lo, exec_lo, s40
	s_and_saveexec_b32 s40, s29
	s_cbranch_execnz .LBB58_95
.LBB58_63:                              ;   in Loop: Header=BB58_33 Depth=1
	s_or_b32 exec_lo, exec_lo, s40
	s_and_saveexec_b32 s40, s30
	s_cbranch_execnz .LBB58_96
.LBB58_64:                              ;   in Loop: Header=BB58_33 Depth=1
	s_or_b32 exec_lo, exec_lo, s40
	v_ashrrev_i32_e32 v11, 31, v10
	s_and_saveexec_b32 s40, s31
	s_cbranch_execnz .LBB58_97
.LBB58_65:                              ;   in Loop: Header=BB58_33 Depth=1
	s_or_b32 exec_lo, exec_lo, s40
	s_and_saveexec_b32 s31, vcc_lo
	s_cbranch_execz .LBB58_32
	s_branch .LBB58_98
.LBB58_66:                              ;   in Loop: Header=BB58_33 Depth=1
	ds_load_b32 v2, v3 offset:16384
	s_wait_dscnt 0x0
	v_add_nc_u32_e32 v10, v2, v10
	s_or_b32 exec_lo, exec_lo, s40
	s_and_saveexec_b32 s40, s1
	s_cbranch_execz .LBB58_35
.LBB58_67:                              ;   in Loop: Header=BB58_33 Depth=1
	ds_load_b32 v2, v3 offset:16392
	s_wait_dscnt 0x0
	v_add_nc_u32_e32 v10, v10, v2
	s_or_b32 exec_lo, exec_lo, s40
	s_and_saveexec_b32 s40, s2
	s_cbranch_execz .LBB58_36
.LBB58_68:                              ;   in Loop: Header=BB58_33 Depth=1
	ds_load_b32 v2, v3 offset:16400
	s_wait_dscnt 0x0
	v_add_nc_u32_e32 v10, v10, v2
	s_or_b32 exec_lo, exec_lo, s40
	s_and_saveexec_b32 s40, s3
	s_cbranch_execz .LBB58_37
.LBB58_69:                              ;   in Loop: Header=BB58_33 Depth=1
	ds_load_b32 v2, v3 offset:16408
	s_wait_dscnt 0x0
	v_add_nc_u32_e32 v10, v10, v2
	s_or_b32 exec_lo, exec_lo, s40
	s_and_saveexec_b32 s40, s4
	s_cbranch_execz .LBB58_38
.LBB58_70:                              ;   in Loop: Header=BB58_33 Depth=1
	ds_load_b32 v2, v3 offset:16416
	s_wait_dscnt 0x0
	v_add_nc_u32_e32 v10, v10, v2
	s_or_b32 exec_lo, exec_lo, s40
	s_and_saveexec_b32 s40, s5
	s_cbranch_execz .LBB58_39
.LBB58_71:                              ;   in Loop: Header=BB58_33 Depth=1
	ds_load_b32 v2, v3 offset:16424
	s_wait_dscnt 0x0
	v_add_nc_u32_e32 v10, v10, v2
	s_or_b32 exec_lo, exec_lo, s40
	s_and_saveexec_b32 s40, s6
	s_cbranch_execz .LBB58_40
.LBB58_72:                              ;   in Loop: Header=BB58_33 Depth=1
	ds_load_b32 v2, v3 offset:16432
	s_wait_dscnt 0x0
	v_add_nc_u32_e32 v10, v10, v2
	s_or_b32 exec_lo, exec_lo, s40
	s_and_saveexec_b32 s40, s7
	s_cbranch_execz .LBB58_41
.LBB58_73:                              ;   in Loop: Header=BB58_33 Depth=1
	ds_load_b32 v2, v3 offset:16440
	s_wait_dscnt 0x0
	v_add_nc_u32_e32 v10, v10, v2
	s_or_b32 exec_lo, exec_lo, s40
	s_and_saveexec_b32 s40, s8
	s_cbranch_execz .LBB58_42
.LBB58_74:                              ;   in Loop: Header=BB58_33 Depth=1
	ds_load_b32 v2, v3 offset:16448
	s_wait_dscnt 0x0
	v_add_nc_u32_e32 v10, v10, v2
	s_or_b32 exec_lo, exec_lo, s40
	s_and_saveexec_b32 s40, s9
	s_cbranch_execz .LBB58_43
.LBB58_75:                              ;   in Loop: Header=BB58_33 Depth=1
	ds_load_b32 v2, v3 offset:16456
	s_wait_dscnt 0x0
	v_add_nc_u32_e32 v10, v10, v2
	s_or_b32 exec_lo, exec_lo, s40
	s_and_saveexec_b32 s40, s10
	s_cbranch_execz .LBB58_44
.LBB58_76:                              ;   in Loop: Header=BB58_33 Depth=1
	ds_load_b32 v2, v3 offset:16464
	s_wait_dscnt 0x0
	v_add_nc_u32_e32 v10, v10, v2
	s_or_b32 exec_lo, exec_lo, s40
	s_and_saveexec_b32 s40, s11
	s_cbranch_execz .LBB58_45
.LBB58_77:                              ;   in Loop: Header=BB58_33 Depth=1
	ds_load_b32 v2, v3 offset:16472
	s_wait_dscnt 0x0
	v_add_nc_u32_e32 v10, v10, v2
	s_or_b32 exec_lo, exec_lo, s40
	s_and_saveexec_b32 s40, s12
	s_cbranch_execz .LBB58_46
.LBB58_78:                              ;   in Loop: Header=BB58_33 Depth=1
	ds_load_b32 v2, v3 offset:16480
	s_wait_dscnt 0x0
	v_add_nc_u32_e32 v10, v10, v2
	s_or_b32 exec_lo, exec_lo, s40
	s_and_saveexec_b32 s40, s13
	s_cbranch_execz .LBB58_47
.LBB58_79:                              ;   in Loop: Header=BB58_33 Depth=1
	ds_load_b32 v2, v3 offset:16488
	s_wait_dscnt 0x0
	v_add_nc_u32_e32 v10, v10, v2
	s_or_b32 exec_lo, exec_lo, s40
	s_and_saveexec_b32 s40, s14
	s_cbranch_execz .LBB58_48
.LBB58_80:                              ;   in Loop: Header=BB58_33 Depth=1
	ds_load_b32 v2, v3 offset:16496
	s_wait_dscnt 0x0
	v_add_nc_u32_e32 v10, v10, v2
	s_or_b32 exec_lo, exec_lo, s40
	s_and_saveexec_b32 s40, s15
	s_cbranch_execz .LBB58_49
.LBB58_81:                              ;   in Loop: Header=BB58_33 Depth=1
	ds_load_b32 v2, v3 offset:16504
	s_wait_dscnt 0x0
	v_add_nc_u32_e32 v10, v10, v2
	s_or_b32 exec_lo, exec_lo, s40
	s_and_saveexec_b32 s40, s16
	s_cbranch_execz .LBB58_50
.LBB58_82:                              ;   in Loop: Header=BB58_33 Depth=1
	ds_load_b32 v2, v3 offset:16512
	s_wait_dscnt 0x0
	v_add_nc_u32_e32 v10, v10, v2
	s_or_b32 exec_lo, exec_lo, s40
	s_and_saveexec_b32 s40, s17
	s_cbranch_execz .LBB58_51
.LBB58_83:                              ;   in Loop: Header=BB58_33 Depth=1
	ds_load_b32 v2, v3 offset:16520
	s_wait_dscnt 0x0
	v_add_nc_u32_e32 v10, v10, v2
	s_or_b32 exec_lo, exec_lo, s40
	s_and_saveexec_b32 s40, s18
	s_cbranch_execz .LBB58_52
.LBB58_84:                              ;   in Loop: Header=BB58_33 Depth=1
	ds_load_b32 v2, v3 offset:16528
	s_wait_dscnt 0x0
	v_add_nc_u32_e32 v10, v10, v2
	s_or_b32 exec_lo, exec_lo, s40
	s_and_saveexec_b32 s40, s19
	s_cbranch_execz .LBB58_53
.LBB58_85:                              ;   in Loop: Header=BB58_33 Depth=1
	ds_load_b32 v2, v3 offset:16536
	s_wait_dscnt 0x0
	v_add_nc_u32_e32 v10, v10, v2
	s_or_b32 exec_lo, exec_lo, s40
	s_and_saveexec_b32 s40, s20
	s_cbranch_execz .LBB58_54
.LBB58_86:                              ;   in Loop: Header=BB58_33 Depth=1
	ds_load_b32 v2, v3 offset:16544
	s_wait_dscnt 0x0
	v_add_nc_u32_e32 v10, v10, v2
	s_or_b32 exec_lo, exec_lo, s40
	s_and_saveexec_b32 s40, s21
	s_cbranch_execz .LBB58_55
.LBB58_87:                              ;   in Loop: Header=BB58_33 Depth=1
	ds_load_b32 v2, v3 offset:16552
	s_wait_dscnt 0x0
	v_add_nc_u32_e32 v10, v10, v2
	s_or_b32 exec_lo, exec_lo, s40
	s_and_saveexec_b32 s40, s22
	s_cbranch_execz .LBB58_56
.LBB58_88:                              ;   in Loop: Header=BB58_33 Depth=1
	ds_load_b32 v2, v3 offset:16560
	s_wait_dscnt 0x0
	v_add_nc_u32_e32 v10, v10, v2
	s_or_b32 exec_lo, exec_lo, s40
	s_and_saveexec_b32 s40, s23
	s_cbranch_execz .LBB58_57
.LBB58_89:                              ;   in Loop: Header=BB58_33 Depth=1
	ds_load_b32 v2, v3 offset:16568
	s_wait_dscnt 0x0
	v_add_nc_u32_e32 v10, v10, v2
	s_or_b32 exec_lo, exec_lo, s40
	s_and_saveexec_b32 s40, s24
	s_cbranch_execz .LBB58_58
.LBB58_90:                              ;   in Loop: Header=BB58_33 Depth=1
	ds_load_b32 v2, v3 offset:16576
	s_wait_dscnt 0x0
	v_add_nc_u32_e32 v10, v10, v2
	s_or_b32 exec_lo, exec_lo, s40
	s_and_saveexec_b32 s40, s25
	s_cbranch_execz .LBB58_59
.LBB58_91:                              ;   in Loop: Header=BB58_33 Depth=1
	ds_load_b32 v2, v3 offset:16584
	s_wait_dscnt 0x0
	v_add_nc_u32_e32 v10, v10, v2
	s_or_b32 exec_lo, exec_lo, s40
	s_and_saveexec_b32 s40, s26
	s_cbranch_execz .LBB58_60
.LBB58_92:                              ;   in Loop: Header=BB58_33 Depth=1
	ds_load_b32 v2, v3 offset:16592
	s_wait_dscnt 0x0
	v_add_nc_u32_e32 v10, v10, v2
	s_or_b32 exec_lo, exec_lo, s40
	s_and_saveexec_b32 s40, s27
	s_cbranch_execz .LBB58_61
.LBB58_93:                              ;   in Loop: Header=BB58_33 Depth=1
	ds_load_b32 v2, v3 offset:16600
	s_wait_dscnt 0x0
	v_add_nc_u32_e32 v10, v10, v2
	s_or_b32 exec_lo, exec_lo, s40
	s_and_saveexec_b32 s40, s28
	s_cbranch_execz .LBB58_62
.LBB58_94:                              ;   in Loop: Header=BB58_33 Depth=1
	ds_load_b32 v2, v3 offset:16608
	s_wait_dscnt 0x0
	v_add_nc_u32_e32 v10, v10, v2
	s_or_b32 exec_lo, exec_lo, s40
	s_and_saveexec_b32 s40, s29
	s_cbranch_execz .LBB58_63
.LBB58_95:                              ;   in Loop: Header=BB58_33 Depth=1
	ds_load_b32 v2, v3 offset:16616
	s_wait_dscnt 0x0
	v_add_nc_u32_e32 v10, v10, v2
	s_or_b32 exec_lo, exec_lo, s40
	s_and_saveexec_b32 s40, s30
	s_cbranch_execz .LBB58_64
.LBB58_96:                              ;   in Loop: Header=BB58_33 Depth=1
	ds_load_b32 v2, v3 offset:16624
	s_wait_dscnt 0x0
	v_add_nc_u32_e32 v10, v10, v2
	s_or_b32 exec_lo, exec_lo, s40
	s_delay_alu instid0(VALU_DEP_1)
	v_ashrrev_i32_e32 v11, 31, v10
	s_and_saveexec_b32 s40, s31
	s_cbranch_execz .LBB58_65
.LBB58_97:                              ;   in Loop: Header=BB58_33 Depth=1
	v_lshlrev_b32_e32 v2, 3, v6
	v_lshlrev_b32_e32 v5, 3, v10
	s_delay_alu instid0(VALU_DEP_2) | instskip(NEXT) | instid1(VALU_DEP_1)
	v_add_nc_u32_e32 v2, 0, v2
	v_add3_u32 v2, v2, v5, -8
	ds_store_b64 v2, v[8:9]
	s_or_b32 exec_lo, exec_lo, s40
	s_and_saveexec_b32 s31, vcc_lo
	s_cbranch_execz .LBB58_32
.LBB58_98:                              ;   in Loop: Header=BB58_33 Depth=1
	ds_store_b64 v3, v[10:11] offset:16632
	s_branch .LBB58_32
.LBB58_99:
	s_or_b32 exec_lo, exec_lo, s33
	s_wait_kmcnt 0x0
	s_lshl_b64 s[0:1], s[38:39], 3
	v_mov_b32_e32 v1, 0
	s_add_nc_u64 s[4:5], s[50:51], s[0:1]
	s_mov_b32 s6, exec_lo
	s_load_b128 s[0:3], s[4:5], 0x0
	s_wait_kmcnt 0x0
	s_sub_nc_u64 s[4:5], s[2:3], s[0:1]
	s_delay_alu instid0(SALU_CYCLE_1)
	v_cmpx_gt_i64_e64 s[4:5], v[0:1]
	s_cbranch_execz .LBB58_109
; %bb.100:
	s_sub_nc_u64 s[8:9], s[0:1], s[2:3]
	s_and_b64 s[6:7], s[4:5], 7
	v_cmp_lt_u64_e64 s10, s[8:9], -7
	s_and_b64 s[2:3], s[4:5], -8
	s_mov_b32 s47, 0
	s_cmp_lg_u64 s[6:7], 0
	s_sub_nc_u64 s[0:1], s[0:1], s[46:47]
	s_cselect_b32 s11, -1, 0
	s_mov_b32 s12, s47
	s_branch .LBB58_102
.LBB58_101:                             ;   in Loop: Header=BB58_102 Depth=1
	v_add_nc_u64_e32 v[0:1], 0x400, v[0:1]
	s_wait_dscnt 0x0
	v_add_nc_u64_e32 v[2:3], s[46:47], v[2:3]
	s_delay_alu instid0(VALU_DEP_3) | instskip(NEXT) | instid1(VALU_DEP_3)
	v_lshl_add_u64 v[4:5], v[4:5], 3, s[34:35]
	v_cmp_le_i64_e32 vcc_lo, s[4:5], v[0:1]
	global_store_b64 v[4:5], v[2:3], off
	s_or_b32 s12, vcc_lo, s12
	s_wait_xcnt 0x0
	s_and_not1_b32 exec_lo, exec_lo, s12
	s_cbranch_execz .LBB58_109
.LBB58_102:                             ; =>This Loop Header: Depth=1
                                        ;     Child Loop BB58_104 Depth 2
                                        ;     Child Loop BB58_108 Depth 2
	v_lshl_add_u32 v2, v0, 3, 0
	v_mov_b64_e32 v[4:5], s[0:1]
	s_and_not1_b32 vcc_lo, exec_lo, s10
	s_mov_b64 s[8:9], 0
	ds_load_b64 v[2:3], v2
	s_cbranch_vccnz .LBB58_106
; %bb.103:                              ;   in Loop: Header=BB58_102 Depth=1
	v_mov_b64_e32 v[4:5], s[0:1]
	s_mov_b32 s13, 0
.LBB58_104:                             ;   Parent Loop BB58_102 Depth=1
                                        ; =>  This Inner Loop Header: Depth=2
	s_delay_alu instid0(SALU_CYCLE_1)
	v_dual_mov_b32 v18, s13 :: v_dual_mov_b32 v15, s47
	v_mov_b32_e32 v17, s47
	s_add_nc_u64 s[8:9], s[8:9], 8
	s_add_co_i32 s13, s13, 64
	ds_load_2addr_b64 v[6:9], v18 offset1:1
	ds_load_2addr_b64 v[10:13], v18 offset0:2 offset1:3
	s_cmp_eq_u64 s[2:3], s[8:9]
	s_wait_dscnt 0x1
	v_cmp_gt_i64_e32 vcc_lo, v[2:3], v[6:7]
	v_cndmask_b32_e64 v14, 0, 1, vcc_lo
	v_cmp_gt_i64_e32 vcc_lo, v[2:3], v[8:9]
	s_delay_alu instid0(VALU_DEP_2) | instskip(SKIP_4) | instid1(VALU_DEP_2)
	v_add_nc_u64_e32 v[8:9], v[4:5], v[14:15]
	ds_load_2addr_b64 v[4:7], v18 offset0:4 offset1:5
	v_cndmask_b32_e64 v16, 0, 1, vcc_lo
	s_wait_dscnt 0x1
	v_cmp_gt_i64_e32 vcc_lo, v[2:3], v[10:11]
	v_add_nc_u64_e32 v[8:9], v[8:9], v[16:17]
	v_cndmask_b32_e64 v14, 0, 1, vcc_lo
	v_cmp_gt_i64_e32 vcc_lo, v[2:3], v[12:13]
	s_delay_alu instid0(VALU_DEP_2)
	v_add_nc_u64_e32 v[12:13], v[8:9], v[14:15]
	ds_load_2addr_b64 v[8:11], v18 offset0:6 offset1:7
	v_cndmask_b32_e64 v16, 0, 1, vcc_lo
	s_wait_dscnt 0x1
	v_cmp_gt_i64_e32 vcc_lo, v[2:3], v[4:5]
	v_mov_b32_e32 v5, s47
	s_delay_alu instid0(VALU_DEP_3) | instskip(SKIP_3) | instid1(VALU_DEP_3)
	v_add_nc_u64_e32 v[12:13], v[12:13], v[16:17]
	v_cndmask_b32_e64 v14, 0, 1, vcc_lo
	v_cmp_gt_i64_e32 vcc_lo, v[2:3], v[6:7]
	v_mov_b32_e32 v7, s47
	v_add_nc_u64_e32 v[12:13], v[12:13], v[14:15]
	v_cndmask_b32_e64 v4, 0, 1, vcc_lo
	s_wait_dscnt 0x0
	v_cmp_gt_i64_e32 vcc_lo, v[2:3], v[8:9]
	v_mov_b32_e32 v9, s47
	s_delay_alu instid0(VALU_DEP_3) | instskip(SKIP_2) | instid1(VALU_DEP_2)
	v_add_nc_u64_e32 v[4:5], v[12:13], v[4:5]
	v_cndmask_b32_e64 v6, 0, 1, vcc_lo
	v_cmp_gt_i64_e32 vcc_lo, v[2:3], v[10:11]
	v_add_nc_u64_e32 v[4:5], v[4:5], v[6:7]
	v_cndmask_b32_e64 v8, 0, 1, vcc_lo
	s_delay_alu instid0(VALU_DEP_1)
	v_add_nc_u64_e32 v[4:5], v[4:5], v[8:9]
	s_cbranch_scc0 .LBB58_104
; %bb.105:                              ;   in Loop: Header=BB58_102 Depth=1
	s_mov_b64 s[8:9], s[2:3]
.LBB58_106:                             ;   in Loop: Header=BB58_102 Depth=1
	s_and_not1_b32 vcc_lo, exec_lo, s11
	s_cbranch_vccnz .LBB58_101
; %bb.107:                              ;   in Loop: Header=BB58_102 Depth=1
	s_lshl_b32 s8, s8, 3
	s_delay_alu instid0(SALU_CYCLE_1)
	s_add_co_i32 s13, s8, 0
	s_mov_b64 s[8:9], s[6:7]
.LBB58_108:                             ;   Parent Loop BB58_102 Depth=1
                                        ; =>  This Inner Loop Header: Depth=2
	v_dual_mov_b32 v6, s13 :: v_dual_mov_b32 v9, s47
	s_add_nc_u64 s[8:9], s[8:9], -1
	s_add_co_i32 s13, s13, 8
	s_cmp_lg_u64 s[8:9], 0
	ds_load_b64 v[6:7], v6
	s_wait_dscnt 0x0
	v_cmp_gt_i64_e32 vcc_lo, v[2:3], v[6:7]
	v_cndmask_b32_e64 v8, 0, 1, vcc_lo
	s_delay_alu instid0(VALU_DEP_1)
	v_add_nc_u64_e32 v[4:5], v[4:5], v[8:9]
	s_cbranch_scc1 .LBB58_108
	s_branch .LBB58_101
.LBB58_109:
	s_endpgm
	.section	.rodata,"a",@progbits
	.p2align	6, 0x0
	.amdhsa_kernel _ZN9rocsparseL35csrgemm_symbolic_fill_block_per_rowILj1024ELj32ELj2048ELj137ELj32EllEEvT5_PKS1_S3_PKT4_S3_S6_S3_S6_S3_S6_PS1_21rocsparse_index_base_S8_S8_S8_bb
		.amdhsa_group_segment_fixed_size 0
		.amdhsa_private_segment_fixed_size 0
		.amdhsa_kernarg_size 108
		.amdhsa_user_sgpr_count 2
		.amdhsa_user_sgpr_dispatch_ptr 0
		.amdhsa_user_sgpr_queue_ptr 0
		.amdhsa_user_sgpr_kernarg_segment_ptr 1
		.amdhsa_user_sgpr_dispatch_id 0
		.amdhsa_user_sgpr_kernarg_preload_length 0
		.amdhsa_user_sgpr_kernarg_preload_offset 0
		.amdhsa_user_sgpr_private_segment_size 0
		.amdhsa_wavefront_size32 1
		.amdhsa_uses_dynamic_stack 0
		.amdhsa_enable_private_segment 0
		.amdhsa_system_sgpr_workgroup_id_x 1
		.amdhsa_system_sgpr_workgroup_id_y 0
		.amdhsa_system_sgpr_workgroup_id_z 0
		.amdhsa_system_sgpr_workgroup_info 0
		.amdhsa_system_vgpr_workitem_id 0
		.amdhsa_next_free_vgpr 19
		.amdhsa_next_free_sgpr 52
		.amdhsa_named_barrier_count 0
		.amdhsa_reserve_vcc 1
		.amdhsa_float_round_mode_32 0
		.amdhsa_float_round_mode_16_64 0
		.amdhsa_float_denorm_mode_32 3
		.amdhsa_float_denorm_mode_16_64 3
		.amdhsa_fp16_overflow 0
		.amdhsa_memory_ordered 1
		.amdhsa_forward_progress 1
		.amdhsa_inst_pref_size 28
		.amdhsa_round_robin_scheduling 0
		.amdhsa_exception_fp_ieee_invalid_op 0
		.amdhsa_exception_fp_denorm_src 0
		.amdhsa_exception_fp_ieee_div_zero 0
		.amdhsa_exception_fp_ieee_overflow 0
		.amdhsa_exception_fp_ieee_underflow 0
		.amdhsa_exception_fp_ieee_inexact 0
		.amdhsa_exception_int_div_zero 0
	.end_amdhsa_kernel
	.section	.text._ZN9rocsparseL35csrgemm_symbolic_fill_block_per_rowILj1024ELj32ELj2048ELj137ELj32EllEEvT5_PKS1_S3_PKT4_S3_S6_S3_S6_S3_S6_PS1_21rocsparse_index_base_S8_S8_S8_bb,"axG",@progbits,_ZN9rocsparseL35csrgemm_symbolic_fill_block_per_rowILj1024ELj32ELj2048ELj137ELj32EllEEvT5_PKS1_S3_PKT4_S3_S6_S3_S6_S3_S6_PS1_21rocsparse_index_base_S8_S8_S8_bb,comdat
.Lfunc_end58:
	.size	_ZN9rocsparseL35csrgemm_symbolic_fill_block_per_rowILj1024ELj32ELj2048ELj137ELj32EllEEvT5_PKS1_S3_PKT4_S3_S6_S3_S6_S3_S6_PS1_21rocsparse_index_base_S8_S8_S8_bb, .Lfunc_end58-_ZN9rocsparseL35csrgemm_symbolic_fill_block_per_rowILj1024ELj32ELj2048ELj137ELj32EllEEvT5_PKS1_S3_PKT4_S3_S6_S3_S6_S3_S6_PS1_21rocsparse_index_base_S8_S8_S8_bb
                                        ; -- End function
	.set _ZN9rocsparseL35csrgemm_symbolic_fill_block_per_rowILj1024ELj32ELj2048ELj137ELj32EllEEvT5_PKS1_S3_PKT4_S3_S6_S3_S6_S3_S6_PS1_21rocsparse_index_base_S8_S8_S8_bb.num_vgpr, 19
	.set _ZN9rocsparseL35csrgemm_symbolic_fill_block_per_rowILj1024ELj32ELj2048ELj137ELj32EllEEvT5_PKS1_S3_PKT4_S3_S6_S3_S6_S3_S6_PS1_21rocsparse_index_base_S8_S8_S8_bb.num_agpr, 0
	.set _ZN9rocsparseL35csrgemm_symbolic_fill_block_per_rowILj1024ELj32ELj2048ELj137ELj32EllEEvT5_PKS1_S3_PKT4_S3_S6_S3_S6_S3_S6_PS1_21rocsparse_index_base_S8_S8_S8_bb.numbered_sgpr, 52
	.set _ZN9rocsparseL35csrgemm_symbolic_fill_block_per_rowILj1024ELj32ELj2048ELj137ELj32EllEEvT5_PKS1_S3_PKT4_S3_S6_S3_S6_S3_S6_PS1_21rocsparse_index_base_S8_S8_S8_bb.num_named_barrier, 0
	.set _ZN9rocsparseL35csrgemm_symbolic_fill_block_per_rowILj1024ELj32ELj2048ELj137ELj32EllEEvT5_PKS1_S3_PKT4_S3_S6_S3_S6_S3_S6_PS1_21rocsparse_index_base_S8_S8_S8_bb.private_seg_size, 0
	.set _ZN9rocsparseL35csrgemm_symbolic_fill_block_per_rowILj1024ELj32ELj2048ELj137ELj32EllEEvT5_PKS1_S3_PKT4_S3_S6_S3_S6_S3_S6_PS1_21rocsparse_index_base_S8_S8_S8_bb.uses_vcc, 1
	.set _ZN9rocsparseL35csrgemm_symbolic_fill_block_per_rowILj1024ELj32ELj2048ELj137ELj32EllEEvT5_PKS1_S3_PKT4_S3_S6_S3_S6_S3_S6_PS1_21rocsparse_index_base_S8_S8_S8_bb.uses_flat_scratch, 0
	.set _ZN9rocsparseL35csrgemm_symbolic_fill_block_per_rowILj1024ELj32ELj2048ELj137ELj32EllEEvT5_PKS1_S3_PKT4_S3_S6_S3_S6_S3_S6_PS1_21rocsparse_index_base_S8_S8_S8_bb.has_dyn_sized_stack, 0
	.set _ZN9rocsparseL35csrgemm_symbolic_fill_block_per_rowILj1024ELj32ELj2048ELj137ELj32EllEEvT5_PKS1_S3_PKT4_S3_S6_S3_S6_S3_S6_PS1_21rocsparse_index_base_S8_S8_S8_bb.has_recursion, 0
	.set _ZN9rocsparseL35csrgemm_symbolic_fill_block_per_rowILj1024ELj32ELj2048ELj137ELj32EllEEvT5_PKS1_S3_PKT4_S3_S6_S3_S6_S3_S6_PS1_21rocsparse_index_base_S8_S8_S8_bb.has_indirect_call, 0
	.section	.AMDGPU.csdata,"",@progbits
; Kernel info:
; codeLenInByte = 3580
; TotalNumSgprs: 54
; NumVgprs: 19
; ScratchSize: 0
; MemoryBound: 0
; FloatMode: 240
; IeeeMode: 1
; LDSByteSize: 0 bytes/workgroup (compile time only)
; SGPRBlocks: 0
; VGPRBlocks: 1
; NumSGPRsForWavesPerEU: 54
; NumVGPRsForWavesPerEU: 19
; NamedBarCnt: 0
; Occupancy: 16
; WaveLimiterHint : 1
; COMPUTE_PGM_RSRC2:SCRATCH_EN: 0
; COMPUTE_PGM_RSRC2:USER_SGPR: 2
; COMPUTE_PGM_RSRC2:TRAP_HANDLER: 0
; COMPUTE_PGM_RSRC2:TGID_X_EN: 1
; COMPUTE_PGM_RSRC2:TGID_Y_EN: 0
; COMPUTE_PGM_RSRC2:TGID_Z_EN: 0
; COMPUTE_PGM_RSRC2:TIDIG_COMP_CNT: 0
	.section	.text._ZN9rocsparseL35csrgemm_symbolic_fill_block_per_rowILj1024ELj32ELj2048ELj137ELj64EllEEvT5_PKS1_S3_PKT4_S3_S6_S3_S6_S3_S6_PS1_21rocsparse_index_base_S8_S8_S8_bb,"axG",@progbits,_ZN9rocsparseL35csrgemm_symbolic_fill_block_per_rowILj1024ELj32ELj2048ELj137ELj64EllEEvT5_PKS1_S3_PKT4_S3_S6_S3_S6_S3_S6_PS1_21rocsparse_index_base_S8_S8_S8_bb,comdat
	.globl	_ZN9rocsparseL35csrgemm_symbolic_fill_block_per_rowILj1024ELj32ELj2048ELj137ELj64EllEEvT5_PKS1_S3_PKT4_S3_S6_S3_S6_S3_S6_PS1_21rocsparse_index_base_S8_S8_S8_bb ; -- Begin function _ZN9rocsparseL35csrgemm_symbolic_fill_block_per_rowILj1024ELj32ELj2048ELj137ELj64EllEEvT5_PKS1_S3_PKT4_S3_S6_S3_S6_S3_S6_PS1_21rocsparse_index_base_S8_S8_S8_bb
	.p2align	8
	.type	_ZN9rocsparseL35csrgemm_symbolic_fill_block_per_rowILj1024ELj32ELj2048ELj137ELj64EllEEvT5_PKS1_S3_PKT4_S3_S6_S3_S6_S3_S6_PS1_21rocsparse_index_base_S8_S8_S8_bb,@function
_ZN9rocsparseL35csrgemm_symbolic_fill_block_per_rowILj1024ELj32ELj2048ELj137ELj64EllEEvT5_PKS1_S3_PKT4_S3_S6_S3_S6_S3_S6_PS1_21rocsparse_index_base_S8_S8_S8_bb: ; @_ZN9rocsparseL35csrgemm_symbolic_fill_block_per_rowILj1024ELj32ELj2048ELj137ELj64EllEEvT5_PKS1_S3_PKT4_S3_S6_S3_S6_S3_S6_PS1_21rocsparse_index_base_S8_S8_S8_bb
; %bb.0:
	s_clause 0x3
	s_load_b256 s[16:23], s[0:1], 0x0
	s_load_b64 s[34:35], s[0:1], 0x50
	s_load_b128 s[28:31], s[0:1], 0x40
	s_load_b256 s[4:11], s[0:1], 0x20
	v_lshl_add_u32 v13, v0, 3, 0
	v_or_b32_e32 v16, 0xfffffc00, v0
	s_mov_b32 s2, 0
	s_delay_alu instid0(VALU_DEP_1)
	v_dual_mov_b32 v1, v13 :: v_dual_mov_b32 v4, v16
	s_wait_kmcnt 0x0
	v_mov_b64_e32 v[2:3], s[16:17]
.LBB59_1:                               ; =>This Inner Loop Header: Depth=1
	s_delay_alu instid0(VALU_DEP_2) | instskip(SKIP_4) | instid1(SALU_CYCLE_1)
	v_add_co_u32 v4, s3, 0x400, v4
	s_xor_b32 s3, s3, -1
	ds_store_b64 v1, v[2:3]
	v_add_nc_u32_e32 v1, 0x2000, v1
	s_and_b32 s3, exec_lo, s3
	s_or_b32 s2, s3, s2
	s_delay_alu instid0(SALU_CYCLE_1)
	s_and_not1_b32 exec_lo, exec_lo, s2
	s_cbranch_execnz .LBB59_1
; %bb.2:
	s_or_b32 exec_lo, exec_lo, s2
	s_load_b32 s14, s[0:1], 0x68
	s_wait_dscnt 0x0
	s_barrier_signal -1
	s_barrier_wait -1
	s_load_b64 s[2:3], s[18:19], 0x0
	s_wait_xcnt 0x0
	s_getreg_b32 s18, hwreg(HW_REG_IB_STS2, 6, 4)
	s_wait_kmcnt 0x0
	s_bitcmp1_b32 s14, 0
	s_cselect_b32 s12, -1, 0
	s_bfe_u32 s13, ttmp6, 0x4000c
	s_and_b32 s15, ttmp6, 15
	s_add_co_i32 s13, s13, 1
	s_lshl_b64 s[2:3], s[2:3], 3
	s_mul_i32 s13, ttmp9, s13
	s_add_nc_u64 s[2:3], s[20:21], s[2:3]
	s_add_co_i32 s15, s15, s13
	s_cmp_eq_u32 s18, 0
	s_cselect_b32 s13, ttmp9, s15
	s_load_b128 s[24:27], s[0:1], 0x58
	s_load_b64 s[18:19], s[2:3], s13 offset:0x0 scale_offset
	s_and_b32 vcc_lo, exec_lo, s12
	s_wait_xcnt 0x0
	s_mov_b32 s1, 0
	s_cbranch_vccz .LBB59_18
; %bb.3:
	s_wait_kmcnt 0x0
	s_lshl_b64 s[2:3], s[18:19], 3
	v_dual_mov_b32 v5, 0 :: v_dual_lshrrev_b32 v4, 5, v0
	s_add_nc_u64 s[2:3], s[22:23], s[2:3]
	s_mov_b32 s0, s24
	s_load_b128 s[20:23], s[2:3], 0x0
	s_mov_b32 s15, exec_lo
	v_sub_nc_u64_e64 v[2:3], v[4:5], s[0:1]
	s_wait_kmcnt 0x0
	s_delay_alu instid0(VALU_DEP_1)
	v_add_nc_u64_e32 v[2:3], s[20:21], v[2:3]
	s_sub_nc_u64 s[2:3], s[22:23], s[0:1]
	s_delay_alu instid0(VALU_DEP_1) | instid1(SALU_CYCLE_1)
	v_cmpx_gt_i64_e64 s[2:3], v[2:3]
	s_cbranch_execz .LBB59_17
; %bb.4:
	v_and_b32_e32 v4, 31, v0
	s_mov_b32 s13, 0
	s_mov_b32 s12, s25
	;; [unrolled: 1-line block ×3, first 2 shown]
	s_delay_alu instid0(VALU_DEP_1)
	v_sub_nc_u64_e64 v[4:5], v[4:5], s[12:13]
	s_branch .LBB59_6
.LBB59_5:                               ;   in Loop: Header=BB59_6 Depth=1
	s_or_b32 exec_lo, exec_lo, s21
	v_add_nc_u64_e32 v[2:3], 32, v[2:3]
	s_delay_alu instid0(VALU_DEP_1) | instskip(SKIP_1) | instid1(SALU_CYCLE_1)
	v_cmp_le_i64_e32 vcc_lo, s[2:3], v[2:3]
	s_or_b32 s20, vcc_lo, s20
	s_and_not1_b32 exec_lo, exec_lo, s20
	s_cbranch_execz .LBB59_17
.LBB59_6:                               ; =>This Loop Header: Depth=1
                                        ;     Child Loop BB59_9 Depth 2
                                        ;       Child Loop BB59_12 Depth 3
	v_lshl_add_u64 v[6:7], v[2:3], 3, s[4:5]
	s_mov_b32 s21, exec_lo
	global_load_b64 v[6:7], v[6:7], off
	s_wait_loadcnt 0x0
	v_sub_nc_u64_e64 v[6:7], v[6:7], s[0:1]
	s_delay_alu instid0(VALU_DEP_1) | instskip(SKIP_4) | instid1(VALU_DEP_1)
	v_lshl_add_u64 v[6:7], v[6:7], 3, s[6:7]
	global_load_b128 v[8:11], v[6:7], off
	s_wait_loadcnt 0x0
	v_sub_nc_u64_e64 v[6:7], v[10:11], s[12:13]
	v_add_nc_u64_e32 v[8:9], v[8:9], v[4:5]
	v_cmpx_lt_i64_e64 v[8:9], v[6:7]
	s_cbranch_execz .LBB59_5
; %bb.7:                                ;   in Loop: Header=BB59_6 Depth=1
	s_mov_b32 s22, 0
	s_branch .LBB59_9
.LBB59_8:                               ;   in Loop: Header=BB59_9 Depth=2
	s_or_b32 exec_lo, exec_lo, s23
	v_add_nc_u64_e32 v[8:9], 32, v[8:9]
	s_delay_alu instid0(VALU_DEP_1) | instskip(SKIP_1) | instid1(SALU_CYCLE_1)
	v_cmp_ge_i64_e32 vcc_lo, v[8:9], v[6:7]
	s_or_b32 s22, vcc_lo, s22
	s_and_not1_b32 exec_lo, exec_lo, s22
	s_cbranch_execz .LBB59_5
.LBB59_9:                               ;   Parent Loop BB59_6 Depth=1
                                        ; =>  This Loop Header: Depth=2
                                        ;       Child Loop BB59_12 Depth 3
	v_lshl_add_u64 v[10:11], v[8:9], 3, s[8:9]
	s_mov_b32 s23, 0
                                        ; implicit-def: $sgpr24
	global_load_b64 v[10:11], v[10:11], off
	s_wait_loadcnt 0x0
	v_sub_nc_u64_e64 v[10:11], v[10:11], s[12:13]
	s_delay_alu instid0(VALU_DEP_1) | instskip(NEXT) | instid1(VALU_DEP_1)
	v_mul_lo_u32 v1, 0x89, v10
	v_and_b32_e32 v12, 0x7ff, v1
	s_branch .LBB59_12
.LBB59_10:                              ;   in Loop: Header=BB59_12 Depth=3
	s_or_b32 exec_lo, exec_lo, s33
	s_delay_alu instid0(SALU_CYCLE_1) | instskip(SKIP_1) | instid1(SALU_CYCLE_1)
	s_and_not1_b32 s24, s24, exec_lo
	s_and_b32 s33, s36, exec_lo
	s_or_b32 s24, s24, s33
.LBB59_11:                              ;   in Loop: Header=BB59_12 Depth=3
	s_or_b32 exec_lo, exec_lo, s25
	s_xor_b32 s25, s24, -1
	s_delay_alu instid0(SALU_CYCLE_1) | instskip(NEXT) | instid1(SALU_CYCLE_1)
	s_and_b32 s25, exec_lo, s25
	s_or_b32 s23, s25, s23
	s_delay_alu instid0(SALU_CYCLE_1)
	s_and_not1_b32 exec_lo, exec_lo, s23
	s_cbranch_execz .LBB59_8
.LBB59_12:                              ;   Parent Loop BB59_6 Depth=1
                                        ;     Parent Loop BB59_9 Depth=2
                                        ; =>    This Inner Loop Header: Depth=3
	s_delay_alu instid0(VALU_DEP_1)
	v_lshl_add_u32 v1, v12, 3, 0
	s_and_not1_b32 s24, s24, exec_lo
	s_mov_b32 s25, exec_lo
	ds_load_b64 v[14:15], v1
	s_wait_dscnt 0x0
	v_cmpx_ne_u64_e64 v[14:15], v[10:11]
	s_cbranch_execz .LBB59_11
; %bb.13:                               ;   in Loop: Header=BB59_12 Depth=3
	s_mov_b32 s33, exec_lo
	v_cmpx_ne_u64_e64 s[16:17], v[14:15]
	s_xor_b32 s33, exec_lo, s33
; %bb.14:                               ;   in Loop: Header=BB59_12 Depth=3
	v_add_nc_u32_e32 v1, 1, v12
	s_delay_alu instid0(VALU_DEP_1)
	v_and_b32_e32 v12, 0x7ff, v1
                                        ; implicit-def: $vgpr1
; %bb.15:                               ;   in Loop: Header=BB59_12 Depth=3
	s_or_saveexec_b32 s33, s33
	s_mov_b32 s36, -1
	s_xor_b32 exec_lo, exec_lo, s33
	s_cbranch_execz .LBB59_10
; %bb.16:                               ;   in Loop: Header=BB59_12 Depth=3
	v_mov_b64_e32 v[14:15], s[16:17]
	ds_cmpstore_rtn_b64 v[14:15], v1, v[10:11], v[14:15]
	s_wait_dscnt 0x0
	v_cmp_ne_u64_e32 vcc_lo, s[16:17], v[14:15]
	s_or_not1_b32 s36, vcc_lo, exec_lo
	s_branch .LBB59_10
.LBB59_17:
	s_or_b32 exec_lo, exec_lo, s15
.LBB59_18:
	s_bfe_u32 s0, s14, 0x10008
	s_delay_alu instid0(SALU_CYCLE_1)
	s_cmp_eq_u32 s0, 0
	s_cbranch_scc1 .LBB59_31
; %bb.19:
	s_wait_kmcnt 0x0
	s_lshl_b64 s[0:1], s[18:19], 3
	v_mov_b32_e32 v1, 0
	s_add_nc_u64 s[0:1], s[10:11], s[0:1]
	s_load_b128 s[4:7], s[0:1], 0x0
	s_wait_xcnt 0x0
	s_mov_b32 s1, 0
	s_mov_b32 s0, s27
	s_delay_alu instid0(SALU_CYCLE_1) | instskip(SKIP_1) | instid1(VALU_DEP_1)
	v_sub_nc_u64_e64 v[2:3], v[0:1], s[0:1]
	s_wait_kmcnt 0x0
	v_add_nc_u64_e32 v[2:3], s[4:5], v[2:3]
	s_sub_nc_u64 s[2:3], s[6:7], s[0:1]
	s_mov_b32 s4, exec_lo
	s_delay_alu instid0(VALU_DEP_1)
	v_cmpx_gt_i64_e64 s[2:3], v[2:3]
	s_cbranch_execz .LBB59_30
; %bb.20:
	s_mov_b32 s5, s1
	s_branch .LBB59_22
.LBB59_21:                              ;   in Loop: Header=BB59_22 Depth=1
	s_or_b32 exec_lo, exec_lo, s6
	v_add_nc_u64_e32 v[2:3], 0x400, v[2:3]
	s_delay_alu instid0(VALU_DEP_1) | instskip(SKIP_1) | instid1(SALU_CYCLE_1)
	v_cmp_le_i64_e32 vcc_lo, s[2:3], v[2:3]
	s_or_b32 s5, vcc_lo, s5
	s_and_not1_b32 exec_lo, exec_lo, s5
	s_cbranch_execz .LBB59_30
.LBB59_22:                              ; =>This Loop Header: Depth=1
                                        ;     Child Loop BB59_25 Depth 2
	v_lshl_add_u64 v[4:5], v[2:3], 3, s[28:29]
	s_mov_b32 s6, 0
                                        ; implicit-def: $sgpr7
	global_load_b64 v[4:5], v[4:5], off
	s_wait_loadcnt 0x0
	v_sub_nc_u64_e64 v[4:5], v[4:5], s[0:1]
	s_delay_alu instid0(VALU_DEP_1) | instskip(NEXT) | instid1(VALU_DEP_1)
	v_mul_lo_u32 v1, 0x89, v4
	v_and_b32_e32 v6, 0x7ff, v1
	s_branch .LBB59_25
.LBB59_23:                              ;   in Loop: Header=BB59_25 Depth=2
	s_or_b32 exec_lo, exec_lo, s9
	s_delay_alu instid0(SALU_CYCLE_1) | instskip(SKIP_1) | instid1(SALU_CYCLE_1)
	s_and_not1_b32 s7, s7, exec_lo
	s_and_b32 s9, s10, exec_lo
	s_or_b32 s7, s7, s9
.LBB59_24:                              ;   in Loop: Header=BB59_25 Depth=2
	s_or_b32 exec_lo, exec_lo, s8
	s_xor_b32 s8, s7, -1
	s_delay_alu instid0(SALU_CYCLE_1) | instskip(NEXT) | instid1(SALU_CYCLE_1)
	s_and_b32 s8, exec_lo, s8
	s_or_b32 s6, s8, s6
	s_delay_alu instid0(SALU_CYCLE_1)
	s_and_not1_b32 exec_lo, exec_lo, s6
	s_cbranch_execz .LBB59_21
.LBB59_25:                              ;   Parent Loop BB59_22 Depth=1
                                        ; =>  This Inner Loop Header: Depth=2
	s_delay_alu instid0(VALU_DEP_1)
	v_lshl_add_u32 v1, v6, 3, 0
	s_and_not1_b32 s7, s7, exec_lo
	s_mov_b32 s8, exec_lo
	ds_load_b64 v[8:9], v1
	s_wait_dscnt 0x0
	v_cmpx_ne_u64_e64 v[8:9], v[4:5]
	s_cbranch_execz .LBB59_24
; %bb.26:                               ;   in Loop: Header=BB59_25 Depth=2
	s_mov_b32 s9, exec_lo
	v_cmpx_ne_u64_e64 s[16:17], v[8:9]
	s_xor_b32 s9, exec_lo, s9
; %bb.27:                               ;   in Loop: Header=BB59_25 Depth=2
	v_add_nc_u32_e32 v1, 1, v6
	s_delay_alu instid0(VALU_DEP_1)
	v_and_b32_e32 v6, 0x7ff, v1
                                        ; implicit-def: $vgpr1
; %bb.28:                               ;   in Loop: Header=BB59_25 Depth=2
	s_or_saveexec_b32 s9, s9
	s_mov_b32 s10, -1
	s_xor_b32 exec_lo, exec_lo, s9
	s_cbranch_execz .LBB59_23
; %bb.29:                               ;   in Loop: Header=BB59_25 Depth=2
	v_mov_b64_e32 v[8:9], s[16:17]
	ds_cmpstore_rtn_b64 v[8:9], v1, v[4:5], v[8:9]
	s_wait_dscnt 0x0
	v_cmp_ne_u64_e32 vcc_lo, s[16:17], v[8:9]
	s_or_not1_b32 s10, vcc_lo, exec_lo
	s_branch .LBB59_23
.LBB59_30:
	s_or_b32 exec_lo, exec_lo, s4
.LBB59_31:
	v_mbcnt_lo_u32_b32 v1, -1, 0
	v_dual_mov_b32 v3, 0 :: v_dual_lshrrev_b32 v2, 3, v0
	v_mov_b64_e32 v[6:7], 0
	v_cmp_lt_u32_e64 s0, 63, v0
	s_delay_alu instid0(VALU_DEP_4) | instskip(NEXT) | instid1(VALU_DEP_4)
	v_xor_b32_e32 v1, 31, v1
	v_and_b32_e32 v2, 0x78, v2
	v_cmp_lt_u32_e64 s1, 0x7f, v0
	v_cmp_lt_u32_e64 s2, 0xbf, v0
	;; [unrolled: 1-line block ×3, first 2 shown]
	v_lshrrev_b32_e64 v4, v1, -1
	v_add_nc_u32_e32 v1, 0, v2
	v_cmp_lt_u32_e64 s4, 0x13f, v0
	v_cmp_lt_u32_e64 s5, 0x17f, v0
	;; [unrolled: 1-line block ×11, first 2 shown]
	s_mov_b32 s20, 0
	v_cmp_eq_u32_e32 vcc_lo, 0x3ff, v0
	s_barrier_signal -1
	s_barrier_wait -1
	s_branch .LBB59_33
.LBB59_32:                              ;   in Loop: Header=BB59_33 Depth=1
	s_or_b32 exec_lo, exec_lo, s15
	s_wait_dscnt 0x0
	s_barrier_signal -1
	s_barrier_wait -1
	ds_load_b64 v[8:9], v3 offset:16504
	v_add_co_u32 v16, s15, 0x400, v16
	s_xor_b32 s15, s15, -1
	v_add_nc_u32_e32 v13, 0x2000, v13
	s_and_b32 s15, exec_lo, s15
	s_delay_alu instid0(SALU_CYCLE_1)
	s_or_b32 s20, s15, s20
	s_wait_dscnt 0x0
	v_add_nc_u64_e32 v[6:7], v[8:9], v[6:7]
	s_and_not1_b32 exec_lo, exec_lo, s20
	s_cbranch_execz .LBB59_67
.LBB59_33:                              ; =>This Inner Loop Header: Depth=1
	ds_load_b64 v[8:9], v13
	s_wait_dscnt 0x0
	s_barrier_signal -1
	s_barrier_wait -1
	v_cmp_gt_i64_e64 s15, s[16:17], v[8:9]
	s_bcnt1_i32_b32 s21, s15
	s_delay_alu instid0(SALU_CYCLE_1) | instskip(NEXT) | instid1(VALU_DEP_1)
	v_dual_mov_b32 v2, s21 :: v_dual_bitop2_b32 v5, s15, v4 bitop3:0x40
	v_bcnt_u32_b32 v10, v5, 0
	ds_store_b64 v1, v[2:3] offset:16384
	s_wait_dscnt 0x0
	s_barrier_signal -1
	s_barrier_wait -1
	s_and_saveexec_b32 s21, s0
	s_cbranch_execnz .LBB59_50
; %bb.34:                               ;   in Loop: Header=BB59_33 Depth=1
	s_or_b32 exec_lo, exec_lo, s21
	s_and_saveexec_b32 s21, s1
	s_cbranch_execnz .LBB59_51
.LBB59_35:                              ;   in Loop: Header=BB59_33 Depth=1
	s_or_b32 exec_lo, exec_lo, s21
	s_and_saveexec_b32 s21, s2
	s_cbranch_execnz .LBB59_52
.LBB59_36:                              ;   in Loop: Header=BB59_33 Depth=1
	s_or_b32 exec_lo, exec_lo, s21
	s_and_saveexec_b32 s21, s3
	s_cbranch_execnz .LBB59_53
.LBB59_37:                              ;   in Loop: Header=BB59_33 Depth=1
	s_or_b32 exec_lo, exec_lo, s21
	s_and_saveexec_b32 s21, s4
	s_cbranch_execnz .LBB59_54
.LBB59_38:                              ;   in Loop: Header=BB59_33 Depth=1
	s_or_b32 exec_lo, exec_lo, s21
	s_and_saveexec_b32 s21, s5
	s_cbranch_execnz .LBB59_55
.LBB59_39:                              ;   in Loop: Header=BB59_33 Depth=1
	s_or_b32 exec_lo, exec_lo, s21
	s_and_saveexec_b32 s21, s6
	s_cbranch_execnz .LBB59_56
.LBB59_40:                              ;   in Loop: Header=BB59_33 Depth=1
	s_or_b32 exec_lo, exec_lo, s21
	s_and_saveexec_b32 s21, s7
	s_cbranch_execnz .LBB59_57
.LBB59_41:                              ;   in Loop: Header=BB59_33 Depth=1
	s_or_b32 exec_lo, exec_lo, s21
	s_and_saveexec_b32 s21, s8
	s_cbranch_execnz .LBB59_58
.LBB59_42:                              ;   in Loop: Header=BB59_33 Depth=1
	s_or_b32 exec_lo, exec_lo, s21
	s_and_saveexec_b32 s21, s9
	s_cbranch_execnz .LBB59_59
.LBB59_43:                              ;   in Loop: Header=BB59_33 Depth=1
	s_or_b32 exec_lo, exec_lo, s21
	s_and_saveexec_b32 s21, s10
	s_cbranch_execnz .LBB59_60
.LBB59_44:                              ;   in Loop: Header=BB59_33 Depth=1
	s_or_b32 exec_lo, exec_lo, s21
	s_and_saveexec_b32 s21, s11
	s_cbranch_execnz .LBB59_61
.LBB59_45:                              ;   in Loop: Header=BB59_33 Depth=1
	s_or_b32 exec_lo, exec_lo, s21
	s_and_saveexec_b32 s21, s12
	s_cbranch_execnz .LBB59_62
.LBB59_46:                              ;   in Loop: Header=BB59_33 Depth=1
	s_or_b32 exec_lo, exec_lo, s21
	s_and_saveexec_b32 s21, s13
	s_cbranch_execnz .LBB59_63
.LBB59_47:                              ;   in Loop: Header=BB59_33 Depth=1
	s_or_b32 exec_lo, exec_lo, s21
	s_and_saveexec_b32 s21, s14
	s_cbranch_execnz .LBB59_64
.LBB59_48:                              ;   in Loop: Header=BB59_33 Depth=1
	s_or_b32 exec_lo, exec_lo, s21
	v_ashrrev_i32_e32 v11, 31, v10
	s_and_saveexec_b32 s21, s15
	s_cbranch_execnz .LBB59_65
.LBB59_49:                              ;   in Loop: Header=BB59_33 Depth=1
	s_or_b32 exec_lo, exec_lo, s21
	s_and_saveexec_b32 s15, vcc_lo
	s_cbranch_execz .LBB59_32
	s_branch .LBB59_66
.LBB59_50:                              ;   in Loop: Header=BB59_33 Depth=1
	ds_load_b32 v2, v3 offset:16384
	s_wait_dscnt 0x0
	v_add_nc_u32_e32 v10, v2, v10
	s_or_b32 exec_lo, exec_lo, s21
	s_and_saveexec_b32 s21, s1
	s_cbranch_execz .LBB59_35
.LBB59_51:                              ;   in Loop: Header=BB59_33 Depth=1
	ds_load_b32 v2, v3 offset:16392
	s_wait_dscnt 0x0
	v_add_nc_u32_e32 v10, v10, v2
	s_or_b32 exec_lo, exec_lo, s21
	s_and_saveexec_b32 s21, s2
	s_cbranch_execz .LBB59_36
.LBB59_52:                              ;   in Loop: Header=BB59_33 Depth=1
	ds_load_b32 v2, v3 offset:16400
	s_wait_dscnt 0x0
	v_add_nc_u32_e32 v10, v10, v2
	s_or_b32 exec_lo, exec_lo, s21
	s_and_saveexec_b32 s21, s3
	s_cbranch_execz .LBB59_37
.LBB59_53:                              ;   in Loop: Header=BB59_33 Depth=1
	ds_load_b32 v2, v3 offset:16408
	s_wait_dscnt 0x0
	v_add_nc_u32_e32 v10, v10, v2
	s_or_b32 exec_lo, exec_lo, s21
	s_and_saveexec_b32 s21, s4
	s_cbranch_execz .LBB59_38
.LBB59_54:                              ;   in Loop: Header=BB59_33 Depth=1
	ds_load_b32 v2, v3 offset:16416
	s_wait_dscnt 0x0
	v_add_nc_u32_e32 v10, v10, v2
	s_or_b32 exec_lo, exec_lo, s21
	s_and_saveexec_b32 s21, s5
	s_cbranch_execz .LBB59_39
.LBB59_55:                              ;   in Loop: Header=BB59_33 Depth=1
	ds_load_b32 v2, v3 offset:16424
	s_wait_dscnt 0x0
	v_add_nc_u32_e32 v10, v10, v2
	s_or_b32 exec_lo, exec_lo, s21
	s_and_saveexec_b32 s21, s6
	s_cbranch_execz .LBB59_40
.LBB59_56:                              ;   in Loop: Header=BB59_33 Depth=1
	ds_load_b32 v2, v3 offset:16432
	s_wait_dscnt 0x0
	v_add_nc_u32_e32 v10, v10, v2
	s_or_b32 exec_lo, exec_lo, s21
	s_and_saveexec_b32 s21, s7
	s_cbranch_execz .LBB59_41
.LBB59_57:                              ;   in Loop: Header=BB59_33 Depth=1
	ds_load_b32 v2, v3 offset:16440
	s_wait_dscnt 0x0
	v_add_nc_u32_e32 v10, v10, v2
	s_or_b32 exec_lo, exec_lo, s21
	s_and_saveexec_b32 s21, s8
	s_cbranch_execz .LBB59_42
.LBB59_58:                              ;   in Loop: Header=BB59_33 Depth=1
	ds_load_b32 v2, v3 offset:16448
	s_wait_dscnt 0x0
	v_add_nc_u32_e32 v10, v10, v2
	s_or_b32 exec_lo, exec_lo, s21
	s_and_saveexec_b32 s21, s9
	s_cbranch_execz .LBB59_43
.LBB59_59:                              ;   in Loop: Header=BB59_33 Depth=1
	ds_load_b32 v2, v3 offset:16456
	s_wait_dscnt 0x0
	v_add_nc_u32_e32 v10, v10, v2
	s_or_b32 exec_lo, exec_lo, s21
	s_and_saveexec_b32 s21, s10
	s_cbranch_execz .LBB59_44
.LBB59_60:                              ;   in Loop: Header=BB59_33 Depth=1
	ds_load_b32 v2, v3 offset:16464
	s_wait_dscnt 0x0
	v_add_nc_u32_e32 v10, v10, v2
	s_or_b32 exec_lo, exec_lo, s21
	s_and_saveexec_b32 s21, s11
	s_cbranch_execz .LBB59_45
.LBB59_61:                              ;   in Loop: Header=BB59_33 Depth=1
	ds_load_b32 v2, v3 offset:16472
	s_wait_dscnt 0x0
	v_add_nc_u32_e32 v10, v10, v2
	s_or_b32 exec_lo, exec_lo, s21
	s_and_saveexec_b32 s21, s12
	s_cbranch_execz .LBB59_46
.LBB59_62:                              ;   in Loop: Header=BB59_33 Depth=1
	ds_load_b32 v2, v3 offset:16480
	s_wait_dscnt 0x0
	v_add_nc_u32_e32 v10, v10, v2
	s_or_b32 exec_lo, exec_lo, s21
	s_and_saveexec_b32 s21, s13
	s_cbranch_execz .LBB59_47
.LBB59_63:                              ;   in Loop: Header=BB59_33 Depth=1
	ds_load_b32 v2, v3 offset:16488
	s_wait_dscnt 0x0
	v_add_nc_u32_e32 v10, v10, v2
	s_or_b32 exec_lo, exec_lo, s21
	s_and_saveexec_b32 s21, s14
	s_cbranch_execz .LBB59_48
.LBB59_64:                              ;   in Loop: Header=BB59_33 Depth=1
	ds_load_b32 v2, v3 offset:16496
	s_wait_dscnt 0x0
	v_add_nc_u32_e32 v10, v10, v2
	s_or_b32 exec_lo, exec_lo, s21
	s_delay_alu instid0(VALU_DEP_1)
	v_ashrrev_i32_e32 v11, 31, v10
	s_and_saveexec_b32 s21, s15
	s_cbranch_execz .LBB59_49
.LBB59_65:                              ;   in Loop: Header=BB59_33 Depth=1
	v_lshlrev_b32_e32 v2, 3, v6
	v_lshlrev_b32_e32 v5, 3, v10
	s_delay_alu instid0(VALU_DEP_2) | instskip(NEXT) | instid1(VALU_DEP_1)
	v_add_nc_u32_e32 v2, 0, v2
	v_add3_u32 v2, v2, v5, -8
	ds_store_b64 v2, v[8:9]
	s_or_b32 exec_lo, exec_lo, s21
	s_and_saveexec_b32 s15, vcc_lo
	s_cbranch_execz .LBB59_32
.LBB59_66:                              ;   in Loop: Header=BB59_33 Depth=1
	ds_store_b64 v3, v[10:11] offset:16504
	s_branch .LBB59_32
.LBB59_67:
	s_or_b32 exec_lo, exec_lo, s20
	s_wait_kmcnt 0x0
	s_lshl_b64 s[0:1], s[18:19], 3
	v_mov_b32_e32 v1, 0
	s_add_nc_u64 s[4:5], s[30:31], s[0:1]
	s_mov_b32 s6, exec_lo
	s_load_b128 s[0:3], s[4:5], 0x0
	s_wait_kmcnt 0x0
	s_sub_nc_u64 s[4:5], s[2:3], s[0:1]
	s_delay_alu instid0(SALU_CYCLE_1)
	v_cmpx_gt_i64_e64 s[4:5], v[0:1]
	s_cbranch_execz .LBB59_77
; %bb.68:
	s_sub_nc_u64 s[8:9], s[0:1], s[2:3]
	s_and_b64 s[6:7], s[4:5], 7
	v_cmp_lt_u64_e64 s10, s[8:9], -7
	s_and_b64 s[2:3], s[4:5], -8
	s_mov_b32 s27, 0
	s_cmp_lg_u64 s[6:7], 0
	s_sub_nc_u64 s[0:1], s[0:1], s[26:27]
	s_cselect_b32 s11, -1, 0
	s_mov_b32 s12, s27
	s_branch .LBB59_70
.LBB59_69:                              ;   in Loop: Header=BB59_70 Depth=1
	v_add_nc_u64_e32 v[0:1], 0x400, v[0:1]
	s_wait_dscnt 0x0
	v_add_nc_u64_e32 v[2:3], s[26:27], v[2:3]
	s_delay_alu instid0(VALU_DEP_3) | instskip(NEXT) | instid1(VALU_DEP_3)
	v_lshl_add_u64 v[4:5], v[4:5], 3, s[34:35]
	v_cmp_le_i64_e32 vcc_lo, s[4:5], v[0:1]
	global_store_b64 v[4:5], v[2:3], off
	s_or_b32 s12, vcc_lo, s12
	s_wait_xcnt 0x0
	s_and_not1_b32 exec_lo, exec_lo, s12
	s_cbranch_execz .LBB59_77
.LBB59_70:                              ; =>This Loop Header: Depth=1
                                        ;     Child Loop BB59_72 Depth 2
                                        ;     Child Loop BB59_76 Depth 2
	v_lshl_add_u32 v2, v0, 3, 0
	v_mov_b64_e32 v[4:5], s[0:1]
	s_and_not1_b32 vcc_lo, exec_lo, s10
	s_mov_b64 s[8:9], 0
	ds_load_b64 v[2:3], v2
	s_cbranch_vccnz .LBB59_74
; %bb.71:                               ;   in Loop: Header=BB59_70 Depth=1
	v_mov_b64_e32 v[4:5], s[0:1]
	s_mov_b32 s13, 0
.LBB59_72:                              ;   Parent Loop BB59_70 Depth=1
                                        ; =>  This Inner Loop Header: Depth=2
	s_delay_alu instid0(SALU_CYCLE_1)
	v_dual_mov_b32 v18, s13 :: v_dual_mov_b32 v15, s27
	v_mov_b32_e32 v17, s27
	s_add_nc_u64 s[8:9], s[8:9], 8
	s_add_co_i32 s13, s13, 64
	ds_load_2addr_b64 v[6:9], v18 offset1:1
	ds_load_2addr_b64 v[10:13], v18 offset0:2 offset1:3
	s_cmp_eq_u64 s[2:3], s[8:9]
	s_wait_dscnt 0x1
	v_cmp_gt_i64_e32 vcc_lo, v[2:3], v[6:7]
	v_cndmask_b32_e64 v14, 0, 1, vcc_lo
	v_cmp_gt_i64_e32 vcc_lo, v[2:3], v[8:9]
	s_delay_alu instid0(VALU_DEP_2) | instskip(SKIP_4) | instid1(VALU_DEP_2)
	v_add_nc_u64_e32 v[8:9], v[4:5], v[14:15]
	ds_load_2addr_b64 v[4:7], v18 offset0:4 offset1:5
	v_cndmask_b32_e64 v16, 0, 1, vcc_lo
	s_wait_dscnt 0x1
	v_cmp_gt_i64_e32 vcc_lo, v[2:3], v[10:11]
	v_add_nc_u64_e32 v[8:9], v[8:9], v[16:17]
	v_cndmask_b32_e64 v14, 0, 1, vcc_lo
	v_cmp_gt_i64_e32 vcc_lo, v[2:3], v[12:13]
	s_delay_alu instid0(VALU_DEP_2)
	v_add_nc_u64_e32 v[12:13], v[8:9], v[14:15]
	ds_load_2addr_b64 v[8:11], v18 offset0:6 offset1:7
	v_cndmask_b32_e64 v16, 0, 1, vcc_lo
	s_wait_dscnt 0x1
	v_cmp_gt_i64_e32 vcc_lo, v[2:3], v[4:5]
	v_mov_b32_e32 v5, s27
	s_delay_alu instid0(VALU_DEP_3) | instskip(SKIP_3) | instid1(VALU_DEP_3)
	v_add_nc_u64_e32 v[12:13], v[12:13], v[16:17]
	v_cndmask_b32_e64 v14, 0, 1, vcc_lo
	v_cmp_gt_i64_e32 vcc_lo, v[2:3], v[6:7]
	v_mov_b32_e32 v7, s27
	v_add_nc_u64_e32 v[12:13], v[12:13], v[14:15]
	v_cndmask_b32_e64 v4, 0, 1, vcc_lo
	s_wait_dscnt 0x0
	v_cmp_gt_i64_e32 vcc_lo, v[2:3], v[8:9]
	v_mov_b32_e32 v9, s27
	s_delay_alu instid0(VALU_DEP_3) | instskip(SKIP_2) | instid1(VALU_DEP_2)
	v_add_nc_u64_e32 v[4:5], v[12:13], v[4:5]
	v_cndmask_b32_e64 v6, 0, 1, vcc_lo
	v_cmp_gt_i64_e32 vcc_lo, v[2:3], v[10:11]
	v_add_nc_u64_e32 v[4:5], v[4:5], v[6:7]
	v_cndmask_b32_e64 v8, 0, 1, vcc_lo
	s_delay_alu instid0(VALU_DEP_1)
	v_add_nc_u64_e32 v[4:5], v[4:5], v[8:9]
	s_cbranch_scc0 .LBB59_72
; %bb.73:                               ;   in Loop: Header=BB59_70 Depth=1
	s_mov_b64 s[8:9], s[2:3]
.LBB59_74:                              ;   in Loop: Header=BB59_70 Depth=1
	s_and_not1_b32 vcc_lo, exec_lo, s11
	s_cbranch_vccnz .LBB59_69
; %bb.75:                               ;   in Loop: Header=BB59_70 Depth=1
	s_lshl_b32 s8, s8, 3
	s_delay_alu instid0(SALU_CYCLE_1)
	s_add_co_i32 s13, s8, 0
	s_mov_b64 s[8:9], s[6:7]
.LBB59_76:                              ;   Parent Loop BB59_70 Depth=1
                                        ; =>  This Inner Loop Header: Depth=2
	v_dual_mov_b32 v6, s13 :: v_dual_mov_b32 v9, s27
	s_add_nc_u64 s[8:9], s[8:9], -1
	s_add_co_i32 s13, s13, 8
	s_cmp_lg_u64 s[8:9], 0
	ds_load_b64 v[6:7], v6
	s_wait_dscnt 0x0
	v_cmp_gt_i64_e32 vcc_lo, v[2:3], v[6:7]
	v_cndmask_b32_e64 v8, 0, 1, vcc_lo
	s_delay_alu instid0(VALU_DEP_1)
	v_add_nc_u64_e32 v[4:5], v[4:5], v[8:9]
	s_cbranch_scc1 .LBB59_76
	s_branch .LBB59_69
.LBB59_77:
	s_endpgm
	.section	.rodata,"a",@progbits
	.p2align	6, 0x0
	.amdhsa_kernel _ZN9rocsparseL35csrgemm_symbolic_fill_block_per_rowILj1024ELj32ELj2048ELj137ELj64EllEEvT5_PKS1_S3_PKT4_S3_S6_S3_S6_S3_S6_PS1_21rocsparse_index_base_S8_S8_S8_bb
		.amdhsa_group_segment_fixed_size 0
		.amdhsa_private_segment_fixed_size 0
		.amdhsa_kernarg_size 108
		.amdhsa_user_sgpr_count 2
		.amdhsa_user_sgpr_dispatch_ptr 0
		.amdhsa_user_sgpr_queue_ptr 0
		.amdhsa_user_sgpr_kernarg_segment_ptr 1
		.amdhsa_user_sgpr_dispatch_id 0
		.amdhsa_user_sgpr_kernarg_preload_length 0
		.amdhsa_user_sgpr_kernarg_preload_offset 0
		.amdhsa_user_sgpr_private_segment_size 0
		.amdhsa_wavefront_size32 1
		.amdhsa_uses_dynamic_stack 0
		.amdhsa_enable_private_segment 0
		.amdhsa_system_sgpr_workgroup_id_x 1
		.amdhsa_system_sgpr_workgroup_id_y 0
		.amdhsa_system_sgpr_workgroup_id_z 0
		.amdhsa_system_sgpr_workgroup_info 0
		.amdhsa_system_vgpr_workitem_id 0
		.amdhsa_next_free_vgpr 19
		.amdhsa_next_free_sgpr 37
		.amdhsa_named_barrier_count 0
		.amdhsa_reserve_vcc 1
		.amdhsa_float_round_mode_32 0
		.amdhsa_float_round_mode_16_64 0
		.amdhsa_float_denorm_mode_32 3
		.amdhsa_float_denorm_mode_16_64 3
		.amdhsa_fp16_overflow 0
		.amdhsa_memory_ordered 1
		.amdhsa_forward_progress 1
		.amdhsa_inst_pref_size 22
		.amdhsa_round_robin_scheduling 0
		.amdhsa_exception_fp_ieee_invalid_op 0
		.amdhsa_exception_fp_denorm_src 0
		.amdhsa_exception_fp_ieee_div_zero 0
		.amdhsa_exception_fp_ieee_overflow 0
		.amdhsa_exception_fp_ieee_underflow 0
		.amdhsa_exception_fp_ieee_inexact 0
		.amdhsa_exception_int_div_zero 0
	.end_amdhsa_kernel
	.section	.text._ZN9rocsparseL35csrgemm_symbolic_fill_block_per_rowILj1024ELj32ELj2048ELj137ELj64EllEEvT5_PKS1_S3_PKT4_S3_S6_S3_S6_S3_S6_PS1_21rocsparse_index_base_S8_S8_S8_bb,"axG",@progbits,_ZN9rocsparseL35csrgemm_symbolic_fill_block_per_rowILj1024ELj32ELj2048ELj137ELj64EllEEvT5_PKS1_S3_PKT4_S3_S6_S3_S6_S3_S6_PS1_21rocsparse_index_base_S8_S8_S8_bb,comdat
.Lfunc_end59:
	.size	_ZN9rocsparseL35csrgemm_symbolic_fill_block_per_rowILj1024ELj32ELj2048ELj137ELj64EllEEvT5_PKS1_S3_PKT4_S3_S6_S3_S6_S3_S6_PS1_21rocsparse_index_base_S8_S8_S8_bb, .Lfunc_end59-_ZN9rocsparseL35csrgemm_symbolic_fill_block_per_rowILj1024ELj32ELj2048ELj137ELj64EllEEvT5_PKS1_S3_PKT4_S3_S6_S3_S6_S3_S6_PS1_21rocsparse_index_base_S8_S8_S8_bb
                                        ; -- End function
	.set _ZN9rocsparseL35csrgemm_symbolic_fill_block_per_rowILj1024ELj32ELj2048ELj137ELj64EllEEvT5_PKS1_S3_PKT4_S3_S6_S3_S6_S3_S6_PS1_21rocsparse_index_base_S8_S8_S8_bb.num_vgpr, 19
	.set _ZN9rocsparseL35csrgemm_symbolic_fill_block_per_rowILj1024ELj32ELj2048ELj137ELj64EllEEvT5_PKS1_S3_PKT4_S3_S6_S3_S6_S3_S6_PS1_21rocsparse_index_base_S8_S8_S8_bb.num_agpr, 0
	.set _ZN9rocsparseL35csrgemm_symbolic_fill_block_per_rowILj1024ELj32ELj2048ELj137ELj64EllEEvT5_PKS1_S3_PKT4_S3_S6_S3_S6_S3_S6_PS1_21rocsparse_index_base_S8_S8_S8_bb.numbered_sgpr, 37
	.set _ZN9rocsparseL35csrgemm_symbolic_fill_block_per_rowILj1024ELj32ELj2048ELj137ELj64EllEEvT5_PKS1_S3_PKT4_S3_S6_S3_S6_S3_S6_PS1_21rocsparse_index_base_S8_S8_S8_bb.num_named_barrier, 0
	.set _ZN9rocsparseL35csrgemm_symbolic_fill_block_per_rowILj1024ELj32ELj2048ELj137ELj64EllEEvT5_PKS1_S3_PKT4_S3_S6_S3_S6_S3_S6_PS1_21rocsparse_index_base_S8_S8_S8_bb.private_seg_size, 0
	.set _ZN9rocsparseL35csrgemm_symbolic_fill_block_per_rowILj1024ELj32ELj2048ELj137ELj64EllEEvT5_PKS1_S3_PKT4_S3_S6_S3_S6_S3_S6_PS1_21rocsparse_index_base_S8_S8_S8_bb.uses_vcc, 1
	.set _ZN9rocsparseL35csrgemm_symbolic_fill_block_per_rowILj1024ELj32ELj2048ELj137ELj64EllEEvT5_PKS1_S3_PKT4_S3_S6_S3_S6_S3_S6_PS1_21rocsparse_index_base_S8_S8_S8_bb.uses_flat_scratch, 0
	.set _ZN9rocsparseL35csrgemm_symbolic_fill_block_per_rowILj1024ELj32ELj2048ELj137ELj64EllEEvT5_PKS1_S3_PKT4_S3_S6_S3_S6_S3_S6_PS1_21rocsparse_index_base_S8_S8_S8_bb.has_dyn_sized_stack, 0
	.set _ZN9rocsparseL35csrgemm_symbolic_fill_block_per_rowILj1024ELj32ELj2048ELj137ELj64EllEEvT5_PKS1_S3_PKT4_S3_S6_S3_S6_S3_S6_PS1_21rocsparse_index_base_S8_S8_S8_bb.has_recursion, 0
	.set _ZN9rocsparseL35csrgemm_symbolic_fill_block_per_rowILj1024ELj32ELj2048ELj137ELj64EllEEvT5_PKS1_S3_PKT4_S3_S6_S3_S6_S3_S6_PS1_21rocsparse_index_base_S8_S8_S8_bb.has_indirect_call, 0
	.section	.AMDGPU.csdata,"",@progbits
; Kernel info:
; codeLenInByte = 2760
; TotalNumSgprs: 39
; NumVgprs: 19
; ScratchSize: 0
; MemoryBound: 0
; FloatMode: 240
; IeeeMode: 1
; LDSByteSize: 0 bytes/workgroup (compile time only)
; SGPRBlocks: 0
; VGPRBlocks: 1
; NumSGPRsForWavesPerEU: 39
; NumVGPRsForWavesPerEU: 19
; NamedBarCnt: 0
; Occupancy: 16
; WaveLimiterHint : 1
; COMPUTE_PGM_RSRC2:SCRATCH_EN: 0
; COMPUTE_PGM_RSRC2:USER_SGPR: 2
; COMPUTE_PGM_RSRC2:TRAP_HANDLER: 0
; COMPUTE_PGM_RSRC2:TGID_X_EN: 1
; COMPUTE_PGM_RSRC2:TGID_Y_EN: 0
; COMPUTE_PGM_RSRC2:TGID_Z_EN: 0
; COMPUTE_PGM_RSRC2:TIDIG_COMP_CNT: 0
	.section	.text._ZN9rocsparseL35csrgemm_symbolic_fill_block_per_rowILj1024ELj64ELj4096ELj137ELj32EllEEvT5_PKS1_S3_PKT4_S3_S6_S3_S6_S3_S6_PS1_21rocsparse_index_base_S8_S8_S8_bb,"axG",@progbits,_ZN9rocsparseL35csrgemm_symbolic_fill_block_per_rowILj1024ELj64ELj4096ELj137ELj32EllEEvT5_PKS1_S3_PKT4_S3_S6_S3_S6_S3_S6_PS1_21rocsparse_index_base_S8_S8_S8_bb,comdat
	.globl	_ZN9rocsparseL35csrgemm_symbolic_fill_block_per_rowILj1024ELj64ELj4096ELj137ELj32EllEEvT5_PKS1_S3_PKT4_S3_S6_S3_S6_S3_S6_PS1_21rocsparse_index_base_S8_S8_S8_bb ; -- Begin function _ZN9rocsparseL35csrgemm_symbolic_fill_block_per_rowILj1024ELj64ELj4096ELj137ELj32EllEEvT5_PKS1_S3_PKT4_S3_S6_S3_S6_S3_S6_PS1_21rocsparse_index_base_S8_S8_S8_bb
	.p2align	8
	.type	_ZN9rocsparseL35csrgemm_symbolic_fill_block_per_rowILj1024ELj64ELj4096ELj137ELj32EllEEvT5_PKS1_S3_PKT4_S3_S6_S3_S6_S3_S6_PS1_21rocsparse_index_base_S8_S8_S8_bb,@function
_ZN9rocsparseL35csrgemm_symbolic_fill_block_per_rowILj1024ELj64ELj4096ELj137ELj32EllEEvT5_PKS1_S3_PKT4_S3_S6_S3_S6_S3_S6_PS1_21rocsparse_index_base_S8_S8_S8_bb: ; @_ZN9rocsparseL35csrgemm_symbolic_fill_block_per_rowILj1024ELj64ELj4096ELj137ELj32EllEEvT5_PKS1_S3_PKT4_S3_S6_S3_S6_S3_S6_PS1_21rocsparse_index_base_S8_S8_S8_bb
; %bb.0:
	s_clause 0x3
	s_load_b256 s[36:43], s[0:1], 0x0
	s_load_b64 s[34:35], s[0:1], 0x50
	s_load_b128 s[48:51], s[0:1], 0x40
	s_load_b256 s[4:11], s[0:1], 0x20
	v_lshl_add_u32 v13, v0, 3, 0
	v_or_b32_e32 v16, 0xfffffc00, v0
	s_mov_b32 s2, 0
	s_delay_alu instid0(VALU_DEP_1)
	v_dual_mov_b32 v1, v13 :: v_dual_mov_b32 v4, v16
	s_wait_kmcnt 0x0
	v_mov_b64_e32 v[2:3], s[36:37]
.LBB60_1:                               ; =>This Inner Loop Header: Depth=1
	s_delay_alu instid0(VALU_DEP_2) | instskip(SKIP_4) | instid1(SALU_CYCLE_1)
	v_add_nc_u32_e32 v4, 0x400, v4
	ds_store_b64 v1, v[2:3]
	v_add_nc_u32_e32 v1, 0x2000, v1
	v_cmp_lt_u32_e32 vcc_lo, 0xbff, v4
	s_or_b32 s2, vcc_lo, s2
	s_and_not1_b32 exec_lo, exec_lo, s2
	s_cbranch_execnz .LBB60_1
; %bb.2:
	s_or_b32 exec_lo, exec_lo, s2
	s_load_b32 s14, s[0:1], 0x68
	s_wait_dscnt 0x0
	s_barrier_signal -1
	s_barrier_wait -1
	s_load_b64 s[2:3], s[38:39], 0x0
	s_getreg_b32 s16, hwreg(HW_REG_IB_STS2, 6, 4)
	s_wait_kmcnt 0x0
	s_bitcmp1_b32 s14, 0
	s_cselect_b32 s12, -1, 0
	s_bfe_u32 s13, ttmp6, 0x4000c
	s_and_b32 s15, ttmp6, 15
	s_add_co_i32 s13, s13, 1
	s_lshl_b64 s[2:3], s[2:3], 3
	s_mul_i32 s13, ttmp9, s13
	s_add_nc_u64 s[2:3], s[40:41], s[2:3]
	s_add_co_i32 s15, s15, s13
	s_cmp_eq_u32 s16, 0
	s_cselect_b32 s13, ttmp9, s15
	s_load_b128 s[44:47], s[0:1], 0x58
	s_load_b64 s[38:39], s[2:3], s13 offset:0x0 scale_offset
	s_and_b32 vcc_lo, exec_lo, s12
	s_wait_xcnt 0x0
	s_mov_b32 s1, 0
	s_cbranch_vccz .LBB60_18
; %bb.3:
	s_wait_kmcnt 0x0
	s_lshl_b64 s[2:3], s[38:39], 3
	v_dual_mov_b32 v5, 0 :: v_dual_lshrrev_b32 v4, 6, v0
	s_add_nc_u64 s[2:3], s[42:43], s[2:3]
	s_mov_b32 s0, s44
	s_load_b128 s[16:19], s[2:3], 0x0
	s_mov_b32 s15, exec_lo
	v_sub_nc_u64_e64 v[2:3], v[4:5], s[0:1]
	s_wait_kmcnt 0x0
	s_delay_alu instid0(VALU_DEP_1)
	v_add_nc_u64_e32 v[2:3], s[16:17], v[2:3]
	s_sub_nc_u64 s[2:3], s[18:19], s[0:1]
	s_delay_alu instid0(VALU_DEP_1) | instid1(SALU_CYCLE_1)
	v_cmpx_gt_i64_e64 s[2:3], v[2:3]
	s_cbranch_execz .LBB60_17
; %bb.4:
	v_and_b32_e32 v4, 63, v0
	s_mov_b32 s13, 0
	s_mov_b32 s12, s45
	;; [unrolled: 1-line block ×3, first 2 shown]
	s_delay_alu instid0(VALU_DEP_1)
	v_sub_nc_u64_e64 v[4:5], v[4:5], s[12:13]
	s_branch .LBB60_6
.LBB60_5:                               ;   in Loop: Header=BB60_6 Depth=1
	s_or_b32 exec_lo, exec_lo, s17
	v_add_nc_u64_e32 v[2:3], 16, v[2:3]
	s_delay_alu instid0(VALU_DEP_1) | instskip(SKIP_1) | instid1(SALU_CYCLE_1)
	v_cmp_le_i64_e32 vcc_lo, s[2:3], v[2:3]
	s_or_b32 s16, vcc_lo, s16
	s_and_not1_b32 exec_lo, exec_lo, s16
	s_cbranch_execz .LBB60_17
.LBB60_6:                               ; =>This Loop Header: Depth=1
                                        ;     Child Loop BB60_9 Depth 2
                                        ;       Child Loop BB60_12 Depth 3
	v_lshl_add_u64 v[6:7], v[2:3], 3, s[4:5]
	s_mov_b32 s17, exec_lo
	global_load_b64 v[6:7], v[6:7], off
	s_wait_loadcnt 0x0
	v_sub_nc_u64_e64 v[6:7], v[6:7], s[0:1]
	s_delay_alu instid0(VALU_DEP_1) | instskip(SKIP_4) | instid1(VALU_DEP_1)
	v_lshl_add_u64 v[6:7], v[6:7], 3, s[6:7]
	global_load_b128 v[8:11], v[6:7], off
	s_wait_loadcnt 0x0
	v_sub_nc_u64_e64 v[6:7], v[10:11], s[12:13]
	v_add_nc_u64_e32 v[8:9], v[8:9], v[4:5]
	v_cmpx_lt_i64_e64 v[8:9], v[6:7]
	s_cbranch_execz .LBB60_5
; %bb.7:                                ;   in Loop: Header=BB60_6 Depth=1
	s_mov_b32 s18, 0
	s_branch .LBB60_9
.LBB60_8:                               ;   in Loop: Header=BB60_9 Depth=2
	s_or_b32 exec_lo, exec_lo, s19
	v_add_nc_u64_e32 v[8:9], 64, v[8:9]
	s_delay_alu instid0(VALU_DEP_1) | instskip(SKIP_1) | instid1(SALU_CYCLE_1)
	v_cmp_ge_i64_e32 vcc_lo, v[8:9], v[6:7]
	s_or_b32 s18, vcc_lo, s18
	s_and_not1_b32 exec_lo, exec_lo, s18
	s_cbranch_execz .LBB60_5
.LBB60_9:                               ;   Parent Loop BB60_6 Depth=1
                                        ; =>  This Loop Header: Depth=2
                                        ;       Child Loop BB60_12 Depth 3
	v_lshl_add_u64 v[10:11], v[8:9], 3, s[8:9]
	s_mov_b32 s19, 0
                                        ; implicit-def: $sgpr20
	global_load_b64 v[10:11], v[10:11], off
	s_wait_loadcnt 0x0
	v_sub_nc_u64_e64 v[10:11], v[10:11], s[12:13]
	s_delay_alu instid0(VALU_DEP_1) | instskip(NEXT) | instid1(VALU_DEP_1)
	v_mul_lo_u32 v1, 0x89, v10
	v_and_b32_e32 v12, 0xfff, v1
	s_branch .LBB60_12
.LBB60_10:                              ;   in Loop: Header=BB60_12 Depth=3
	s_or_b32 exec_lo, exec_lo, s22
	s_delay_alu instid0(SALU_CYCLE_1) | instskip(SKIP_1) | instid1(SALU_CYCLE_1)
	s_and_not1_b32 s20, s20, exec_lo
	s_and_b32 s22, s23, exec_lo
	s_or_b32 s20, s20, s22
.LBB60_11:                              ;   in Loop: Header=BB60_12 Depth=3
	s_or_b32 exec_lo, exec_lo, s21
	s_xor_b32 s21, s20, -1
	s_delay_alu instid0(SALU_CYCLE_1) | instskip(NEXT) | instid1(SALU_CYCLE_1)
	s_and_b32 s21, exec_lo, s21
	s_or_b32 s19, s21, s19
	s_delay_alu instid0(SALU_CYCLE_1)
	s_and_not1_b32 exec_lo, exec_lo, s19
	s_cbranch_execz .LBB60_8
.LBB60_12:                              ;   Parent Loop BB60_6 Depth=1
                                        ;     Parent Loop BB60_9 Depth=2
                                        ; =>    This Inner Loop Header: Depth=3
	s_delay_alu instid0(VALU_DEP_1)
	v_lshl_add_u32 v1, v12, 3, 0
	s_and_not1_b32 s20, s20, exec_lo
	s_mov_b32 s21, exec_lo
	ds_load_b64 v[14:15], v1
	s_wait_dscnt 0x0
	v_cmpx_ne_u64_e64 v[14:15], v[10:11]
	s_cbranch_execz .LBB60_11
; %bb.13:                               ;   in Loop: Header=BB60_12 Depth=3
	s_mov_b32 s22, exec_lo
	v_cmpx_ne_u64_e64 s[36:37], v[14:15]
	s_xor_b32 s22, exec_lo, s22
; %bb.14:                               ;   in Loop: Header=BB60_12 Depth=3
	v_add_nc_u32_e32 v1, 1, v12
	s_delay_alu instid0(VALU_DEP_1)
	v_and_b32_e32 v12, 0xfff, v1
                                        ; implicit-def: $vgpr1
; %bb.15:                               ;   in Loop: Header=BB60_12 Depth=3
	s_or_saveexec_b32 s22, s22
	s_mov_b32 s23, -1
	s_xor_b32 exec_lo, exec_lo, s22
	s_cbranch_execz .LBB60_10
; %bb.16:                               ;   in Loop: Header=BB60_12 Depth=3
	v_mov_b64_e32 v[14:15], s[36:37]
	ds_cmpstore_rtn_b64 v[14:15], v1, v[10:11], v[14:15]
	s_wait_dscnt 0x0
	v_cmp_ne_u64_e32 vcc_lo, s[36:37], v[14:15]
	s_or_not1_b32 s23, vcc_lo, exec_lo
	s_branch .LBB60_10
.LBB60_17:
	s_or_b32 exec_lo, exec_lo, s15
.LBB60_18:
	s_bfe_u32 s0, s14, 0x10008
	s_delay_alu instid0(SALU_CYCLE_1)
	s_cmp_eq_u32 s0, 0
	s_cbranch_scc1 .LBB60_31
; %bb.19:
	s_wait_kmcnt 0x0
	s_lshl_b64 s[0:1], s[38:39], 3
	v_mov_b32_e32 v1, 0
	s_add_nc_u64 s[0:1], s[10:11], s[0:1]
	s_load_b128 s[4:7], s[0:1], 0x0
	s_wait_xcnt 0x0
	s_mov_b32 s1, 0
	s_mov_b32 s0, s47
	s_delay_alu instid0(SALU_CYCLE_1) | instskip(SKIP_1) | instid1(VALU_DEP_1)
	v_sub_nc_u64_e64 v[2:3], v[0:1], s[0:1]
	s_wait_kmcnt 0x0
	v_add_nc_u64_e32 v[2:3], s[4:5], v[2:3]
	s_sub_nc_u64 s[2:3], s[6:7], s[0:1]
	s_mov_b32 s4, exec_lo
	s_delay_alu instid0(VALU_DEP_1)
	v_cmpx_gt_i64_e64 s[2:3], v[2:3]
	s_cbranch_execz .LBB60_30
; %bb.20:
	s_mov_b32 s5, s1
	s_branch .LBB60_22
.LBB60_21:                              ;   in Loop: Header=BB60_22 Depth=1
	s_or_b32 exec_lo, exec_lo, s6
	v_add_nc_u64_e32 v[2:3], 0x400, v[2:3]
	s_delay_alu instid0(VALU_DEP_1) | instskip(SKIP_1) | instid1(SALU_CYCLE_1)
	v_cmp_le_i64_e32 vcc_lo, s[2:3], v[2:3]
	s_or_b32 s5, vcc_lo, s5
	s_and_not1_b32 exec_lo, exec_lo, s5
	s_cbranch_execz .LBB60_30
.LBB60_22:                              ; =>This Loop Header: Depth=1
                                        ;     Child Loop BB60_25 Depth 2
	v_lshl_add_u64 v[4:5], v[2:3], 3, s[48:49]
	s_mov_b32 s6, 0
                                        ; implicit-def: $sgpr7
	global_load_b64 v[4:5], v[4:5], off
	s_wait_loadcnt 0x0
	v_sub_nc_u64_e64 v[4:5], v[4:5], s[0:1]
	s_delay_alu instid0(VALU_DEP_1) | instskip(NEXT) | instid1(VALU_DEP_1)
	v_mul_lo_u32 v1, 0x89, v4
	v_and_b32_e32 v6, 0xfff, v1
	s_branch .LBB60_25
.LBB60_23:                              ;   in Loop: Header=BB60_25 Depth=2
	s_or_b32 exec_lo, exec_lo, s9
	s_delay_alu instid0(SALU_CYCLE_1) | instskip(SKIP_1) | instid1(SALU_CYCLE_1)
	s_and_not1_b32 s7, s7, exec_lo
	s_and_b32 s9, s10, exec_lo
	s_or_b32 s7, s7, s9
.LBB60_24:                              ;   in Loop: Header=BB60_25 Depth=2
	s_or_b32 exec_lo, exec_lo, s8
	s_xor_b32 s8, s7, -1
	s_delay_alu instid0(SALU_CYCLE_1) | instskip(NEXT) | instid1(SALU_CYCLE_1)
	s_and_b32 s8, exec_lo, s8
	s_or_b32 s6, s8, s6
	s_delay_alu instid0(SALU_CYCLE_1)
	s_and_not1_b32 exec_lo, exec_lo, s6
	s_cbranch_execz .LBB60_21
.LBB60_25:                              ;   Parent Loop BB60_22 Depth=1
                                        ; =>  This Inner Loop Header: Depth=2
	s_delay_alu instid0(VALU_DEP_1)
	v_lshl_add_u32 v1, v6, 3, 0
	s_and_not1_b32 s7, s7, exec_lo
	s_mov_b32 s8, exec_lo
	ds_load_b64 v[8:9], v1
	s_wait_dscnt 0x0
	v_cmpx_ne_u64_e64 v[8:9], v[4:5]
	s_cbranch_execz .LBB60_24
; %bb.26:                               ;   in Loop: Header=BB60_25 Depth=2
	s_mov_b32 s9, exec_lo
	v_cmpx_ne_u64_e64 s[36:37], v[8:9]
	s_xor_b32 s9, exec_lo, s9
; %bb.27:                               ;   in Loop: Header=BB60_25 Depth=2
	v_add_nc_u32_e32 v1, 1, v6
	s_delay_alu instid0(VALU_DEP_1)
	v_and_b32_e32 v6, 0xfff, v1
                                        ; implicit-def: $vgpr1
; %bb.28:                               ;   in Loop: Header=BB60_25 Depth=2
	s_or_saveexec_b32 s9, s9
	s_mov_b32 s10, -1
	s_xor_b32 exec_lo, exec_lo, s9
	s_cbranch_execz .LBB60_23
; %bb.29:                               ;   in Loop: Header=BB60_25 Depth=2
	v_mov_b64_e32 v[8:9], s[36:37]
	ds_cmpstore_rtn_b64 v[8:9], v1, v[4:5], v[8:9]
	s_wait_dscnt 0x0
	v_cmp_ne_u64_e32 vcc_lo, s[36:37], v[8:9]
	s_or_not1_b32 s10, vcc_lo, exec_lo
	s_branch .LBB60_23
.LBB60_30:
	s_or_b32 exec_lo, exec_lo, s4
.LBB60_31:
	v_mbcnt_lo_u32_b32 v1, -1, 0
	v_dual_mov_b32 v3, 0 :: v_dual_lshrrev_b32 v2, 2, v0
	v_mov_b64_e32 v[6:7], 0
	v_cmp_lt_u32_e64 s0, 31, v0
	s_delay_alu instid0(VALU_DEP_4) | instskip(NEXT) | instid1(VALU_DEP_4)
	v_xor_b32_e32 v1, 31, v1
	v_and_b32_e32 v2, 0xf8, v2
	v_cmp_lt_u32_e64 s1, 63, v0
	v_cmp_lt_u32_e64 s2, 0x5f, v0
	;; [unrolled: 1-line block ×3, first 2 shown]
	v_lshrrev_b32_e64 v4, v1, -1
	v_add_nc_u32_e32 v1, 0, v2
	v_cmp_lt_u32_e64 s4, 0x9f, v0
	v_cmp_lt_u32_e64 s5, 0xbf, v0
	;; [unrolled: 1-line block ×27, first 2 shown]
	s_mov_b32 s33, 0
	v_cmp_eq_u32_e32 vcc_lo, 0x3ff, v0
	s_barrier_signal -1
	s_barrier_wait -1
	s_branch .LBB60_33
.LBB60_32:                              ;   in Loop: Header=BB60_33 Depth=1
	s_or_b32 exec_lo, exec_lo, s31
	s_wait_dscnt 0x0
	s_barrier_signal -1
	s_barrier_wait -1
	ds_load_b64 v[8:9], v3 offset:33016
	v_add_nc_u32_e32 v16, 0x400, v16
	v_add_nc_u32_e32 v13, 0x2000, v13
	s_delay_alu instid0(VALU_DEP_2)
	v_cmp_lt_u32_e64 s31, 0xbff, v16
	s_or_b32 s33, s31, s33
	s_wait_dscnt 0x0
	v_add_nc_u64_e32 v[6:7], v[8:9], v[6:7]
	s_and_not1_b32 exec_lo, exec_lo, s33
	s_cbranch_execz .LBB60_99
.LBB60_33:                              ; =>This Inner Loop Header: Depth=1
	ds_load_b64 v[8:9], v13
	s_wait_dscnt 0x0
	s_barrier_signal -1
	s_barrier_wait -1
	v_cmp_gt_i64_e64 s31, s[36:37], v[8:9]
	s_bcnt1_i32_b32 s40, s31
	s_delay_alu instid0(SALU_CYCLE_1) | instskip(NEXT) | instid1(VALU_DEP_1)
	v_dual_mov_b32 v2, s40 :: v_dual_bitop2_b32 v5, s31, v4 bitop3:0x40
	v_bcnt_u32_b32 v10, v5, 0
	ds_store_b64 v1, v[2:3] offset:32768
	s_wait_dscnt 0x0
	s_barrier_signal -1
	s_barrier_wait -1
	s_and_saveexec_b32 s40, s0
	s_cbranch_execnz .LBB60_66
; %bb.34:                               ;   in Loop: Header=BB60_33 Depth=1
	s_or_b32 exec_lo, exec_lo, s40
	s_and_saveexec_b32 s40, s1
	s_cbranch_execnz .LBB60_67
.LBB60_35:                              ;   in Loop: Header=BB60_33 Depth=1
	s_or_b32 exec_lo, exec_lo, s40
	s_and_saveexec_b32 s40, s2
	s_cbranch_execnz .LBB60_68
.LBB60_36:                              ;   in Loop: Header=BB60_33 Depth=1
	s_or_b32 exec_lo, exec_lo, s40
	s_and_saveexec_b32 s40, s3
	s_cbranch_execnz .LBB60_69
.LBB60_37:                              ;   in Loop: Header=BB60_33 Depth=1
	s_or_b32 exec_lo, exec_lo, s40
	s_and_saveexec_b32 s40, s4
	s_cbranch_execnz .LBB60_70
.LBB60_38:                              ;   in Loop: Header=BB60_33 Depth=1
	s_or_b32 exec_lo, exec_lo, s40
	s_and_saveexec_b32 s40, s5
	s_cbranch_execnz .LBB60_71
.LBB60_39:                              ;   in Loop: Header=BB60_33 Depth=1
	s_or_b32 exec_lo, exec_lo, s40
	s_and_saveexec_b32 s40, s6
	s_cbranch_execnz .LBB60_72
.LBB60_40:                              ;   in Loop: Header=BB60_33 Depth=1
	s_or_b32 exec_lo, exec_lo, s40
	s_and_saveexec_b32 s40, s7
	s_cbranch_execnz .LBB60_73
.LBB60_41:                              ;   in Loop: Header=BB60_33 Depth=1
	s_or_b32 exec_lo, exec_lo, s40
	s_and_saveexec_b32 s40, s8
	s_cbranch_execnz .LBB60_74
.LBB60_42:                              ;   in Loop: Header=BB60_33 Depth=1
	s_or_b32 exec_lo, exec_lo, s40
	s_and_saveexec_b32 s40, s9
	s_cbranch_execnz .LBB60_75
.LBB60_43:                              ;   in Loop: Header=BB60_33 Depth=1
	s_or_b32 exec_lo, exec_lo, s40
	s_and_saveexec_b32 s40, s10
	s_cbranch_execnz .LBB60_76
.LBB60_44:                              ;   in Loop: Header=BB60_33 Depth=1
	s_or_b32 exec_lo, exec_lo, s40
	s_and_saveexec_b32 s40, s11
	s_cbranch_execnz .LBB60_77
.LBB60_45:                              ;   in Loop: Header=BB60_33 Depth=1
	s_or_b32 exec_lo, exec_lo, s40
	s_and_saveexec_b32 s40, s12
	s_cbranch_execnz .LBB60_78
.LBB60_46:                              ;   in Loop: Header=BB60_33 Depth=1
	s_or_b32 exec_lo, exec_lo, s40
	s_and_saveexec_b32 s40, s13
	s_cbranch_execnz .LBB60_79
.LBB60_47:                              ;   in Loop: Header=BB60_33 Depth=1
	s_or_b32 exec_lo, exec_lo, s40
	s_and_saveexec_b32 s40, s14
	s_cbranch_execnz .LBB60_80
.LBB60_48:                              ;   in Loop: Header=BB60_33 Depth=1
	s_or_b32 exec_lo, exec_lo, s40
	s_and_saveexec_b32 s40, s15
	s_cbranch_execnz .LBB60_81
.LBB60_49:                              ;   in Loop: Header=BB60_33 Depth=1
	s_or_b32 exec_lo, exec_lo, s40
	s_and_saveexec_b32 s40, s16
	s_cbranch_execnz .LBB60_82
.LBB60_50:                              ;   in Loop: Header=BB60_33 Depth=1
	s_or_b32 exec_lo, exec_lo, s40
	s_and_saveexec_b32 s40, s17
	s_cbranch_execnz .LBB60_83
.LBB60_51:                              ;   in Loop: Header=BB60_33 Depth=1
	s_or_b32 exec_lo, exec_lo, s40
	s_and_saveexec_b32 s40, s18
	s_cbranch_execnz .LBB60_84
.LBB60_52:                              ;   in Loop: Header=BB60_33 Depth=1
	s_or_b32 exec_lo, exec_lo, s40
	s_and_saveexec_b32 s40, s19
	s_cbranch_execnz .LBB60_85
.LBB60_53:                              ;   in Loop: Header=BB60_33 Depth=1
	s_or_b32 exec_lo, exec_lo, s40
	s_and_saveexec_b32 s40, s20
	s_cbranch_execnz .LBB60_86
.LBB60_54:                              ;   in Loop: Header=BB60_33 Depth=1
	s_or_b32 exec_lo, exec_lo, s40
	s_and_saveexec_b32 s40, s21
	s_cbranch_execnz .LBB60_87
.LBB60_55:                              ;   in Loop: Header=BB60_33 Depth=1
	s_or_b32 exec_lo, exec_lo, s40
	s_and_saveexec_b32 s40, s22
	s_cbranch_execnz .LBB60_88
.LBB60_56:                              ;   in Loop: Header=BB60_33 Depth=1
	s_or_b32 exec_lo, exec_lo, s40
	s_and_saveexec_b32 s40, s23
	s_cbranch_execnz .LBB60_89
.LBB60_57:                              ;   in Loop: Header=BB60_33 Depth=1
	s_or_b32 exec_lo, exec_lo, s40
	s_and_saveexec_b32 s40, s24
	s_cbranch_execnz .LBB60_90
.LBB60_58:                              ;   in Loop: Header=BB60_33 Depth=1
	s_or_b32 exec_lo, exec_lo, s40
	s_and_saveexec_b32 s40, s25
	s_cbranch_execnz .LBB60_91
.LBB60_59:                              ;   in Loop: Header=BB60_33 Depth=1
	s_or_b32 exec_lo, exec_lo, s40
	s_and_saveexec_b32 s40, s26
	s_cbranch_execnz .LBB60_92
.LBB60_60:                              ;   in Loop: Header=BB60_33 Depth=1
	s_or_b32 exec_lo, exec_lo, s40
	s_and_saveexec_b32 s40, s27
	s_cbranch_execnz .LBB60_93
.LBB60_61:                              ;   in Loop: Header=BB60_33 Depth=1
	s_or_b32 exec_lo, exec_lo, s40
	s_and_saveexec_b32 s40, s28
	s_cbranch_execnz .LBB60_94
.LBB60_62:                              ;   in Loop: Header=BB60_33 Depth=1
	s_or_b32 exec_lo, exec_lo, s40
	s_and_saveexec_b32 s40, s29
	s_cbranch_execnz .LBB60_95
.LBB60_63:                              ;   in Loop: Header=BB60_33 Depth=1
	s_or_b32 exec_lo, exec_lo, s40
	s_and_saveexec_b32 s40, s30
	s_cbranch_execnz .LBB60_96
.LBB60_64:                              ;   in Loop: Header=BB60_33 Depth=1
	s_or_b32 exec_lo, exec_lo, s40
	v_ashrrev_i32_e32 v11, 31, v10
	s_and_saveexec_b32 s40, s31
	s_cbranch_execnz .LBB60_97
.LBB60_65:                              ;   in Loop: Header=BB60_33 Depth=1
	s_or_b32 exec_lo, exec_lo, s40
	s_and_saveexec_b32 s31, vcc_lo
	s_cbranch_execz .LBB60_32
	s_branch .LBB60_98
.LBB60_66:                              ;   in Loop: Header=BB60_33 Depth=1
	ds_load_b32 v2, v3 offset:32768
	s_wait_dscnt 0x0
	v_add_nc_u32_e32 v10, v2, v10
	s_or_b32 exec_lo, exec_lo, s40
	s_and_saveexec_b32 s40, s1
	s_cbranch_execz .LBB60_35
.LBB60_67:                              ;   in Loop: Header=BB60_33 Depth=1
	ds_load_b32 v2, v3 offset:32776
	s_wait_dscnt 0x0
	v_add_nc_u32_e32 v10, v10, v2
	s_or_b32 exec_lo, exec_lo, s40
	s_and_saveexec_b32 s40, s2
	s_cbranch_execz .LBB60_36
.LBB60_68:                              ;   in Loop: Header=BB60_33 Depth=1
	ds_load_b32 v2, v3 offset:32784
	s_wait_dscnt 0x0
	v_add_nc_u32_e32 v10, v10, v2
	s_or_b32 exec_lo, exec_lo, s40
	s_and_saveexec_b32 s40, s3
	s_cbranch_execz .LBB60_37
.LBB60_69:                              ;   in Loop: Header=BB60_33 Depth=1
	ds_load_b32 v2, v3 offset:32792
	s_wait_dscnt 0x0
	v_add_nc_u32_e32 v10, v10, v2
	s_or_b32 exec_lo, exec_lo, s40
	s_and_saveexec_b32 s40, s4
	s_cbranch_execz .LBB60_38
.LBB60_70:                              ;   in Loop: Header=BB60_33 Depth=1
	ds_load_b32 v2, v3 offset:32800
	s_wait_dscnt 0x0
	v_add_nc_u32_e32 v10, v10, v2
	s_or_b32 exec_lo, exec_lo, s40
	s_and_saveexec_b32 s40, s5
	s_cbranch_execz .LBB60_39
.LBB60_71:                              ;   in Loop: Header=BB60_33 Depth=1
	ds_load_b32 v2, v3 offset:32808
	s_wait_dscnt 0x0
	v_add_nc_u32_e32 v10, v10, v2
	s_or_b32 exec_lo, exec_lo, s40
	s_and_saveexec_b32 s40, s6
	s_cbranch_execz .LBB60_40
.LBB60_72:                              ;   in Loop: Header=BB60_33 Depth=1
	ds_load_b32 v2, v3 offset:32816
	s_wait_dscnt 0x0
	v_add_nc_u32_e32 v10, v10, v2
	s_or_b32 exec_lo, exec_lo, s40
	s_and_saveexec_b32 s40, s7
	s_cbranch_execz .LBB60_41
.LBB60_73:                              ;   in Loop: Header=BB60_33 Depth=1
	ds_load_b32 v2, v3 offset:32824
	s_wait_dscnt 0x0
	v_add_nc_u32_e32 v10, v10, v2
	s_or_b32 exec_lo, exec_lo, s40
	s_and_saveexec_b32 s40, s8
	s_cbranch_execz .LBB60_42
.LBB60_74:                              ;   in Loop: Header=BB60_33 Depth=1
	ds_load_b32 v2, v3 offset:32832
	s_wait_dscnt 0x0
	v_add_nc_u32_e32 v10, v10, v2
	s_or_b32 exec_lo, exec_lo, s40
	s_and_saveexec_b32 s40, s9
	s_cbranch_execz .LBB60_43
.LBB60_75:                              ;   in Loop: Header=BB60_33 Depth=1
	ds_load_b32 v2, v3 offset:32840
	s_wait_dscnt 0x0
	v_add_nc_u32_e32 v10, v10, v2
	s_or_b32 exec_lo, exec_lo, s40
	s_and_saveexec_b32 s40, s10
	s_cbranch_execz .LBB60_44
.LBB60_76:                              ;   in Loop: Header=BB60_33 Depth=1
	ds_load_b32 v2, v3 offset:32848
	s_wait_dscnt 0x0
	v_add_nc_u32_e32 v10, v10, v2
	s_or_b32 exec_lo, exec_lo, s40
	s_and_saveexec_b32 s40, s11
	s_cbranch_execz .LBB60_45
.LBB60_77:                              ;   in Loop: Header=BB60_33 Depth=1
	ds_load_b32 v2, v3 offset:32856
	s_wait_dscnt 0x0
	v_add_nc_u32_e32 v10, v10, v2
	s_or_b32 exec_lo, exec_lo, s40
	s_and_saveexec_b32 s40, s12
	s_cbranch_execz .LBB60_46
.LBB60_78:                              ;   in Loop: Header=BB60_33 Depth=1
	ds_load_b32 v2, v3 offset:32864
	s_wait_dscnt 0x0
	v_add_nc_u32_e32 v10, v10, v2
	s_or_b32 exec_lo, exec_lo, s40
	s_and_saveexec_b32 s40, s13
	s_cbranch_execz .LBB60_47
.LBB60_79:                              ;   in Loop: Header=BB60_33 Depth=1
	ds_load_b32 v2, v3 offset:32872
	s_wait_dscnt 0x0
	v_add_nc_u32_e32 v10, v10, v2
	s_or_b32 exec_lo, exec_lo, s40
	s_and_saveexec_b32 s40, s14
	s_cbranch_execz .LBB60_48
.LBB60_80:                              ;   in Loop: Header=BB60_33 Depth=1
	ds_load_b32 v2, v3 offset:32880
	s_wait_dscnt 0x0
	v_add_nc_u32_e32 v10, v10, v2
	s_or_b32 exec_lo, exec_lo, s40
	s_and_saveexec_b32 s40, s15
	s_cbranch_execz .LBB60_49
.LBB60_81:                              ;   in Loop: Header=BB60_33 Depth=1
	ds_load_b32 v2, v3 offset:32888
	s_wait_dscnt 0x0
	v_add_nc_u32_e32 v10, v10, v2
	s_or_b32 exec_lo, exec_lo, s40
	s_and_saveexec_b32 s40, s16
	s_cbranch_execz .LBB60_50
.LBB60_82:                              ;   in Loop: Header=BB60_33 Depth=1
	ds_load_b32 v2, v3 offset:32896
	s_wait_dscnt 0x0
	v_add_nc_u32_e32 v10, v10, v2
	s_or_b32 exec_lo, exec_lo, s40
	s_and_saveexec_b32 s40, s17
	s_cbranch_execz .LBB60_51
.LBB60_83:                              ;   in Loop: Header=BB60_33 Depth=1
	ds_load_b32 v2, v3 offset:32904
	s_wait_dscnt 0x0
	v_add_nc_u32_e32 v10, v10, v2
	s_or_b32 exec_lo, exec_lo, s40
	s_and_saveexec_b32 s40, s18
	s_cbranch_execz .LBB60_52
.LBB60_84:                              ;   in Loop: Header=BB60_33 Depth=1
	ds_load_b32 v2, v3 offset:32912
	s_wait_dscnt 0x0
	v_add_nc_u32_e32 v10, v10, v2
	s_or_b32 exec_lo, exec_lo, s40
	s_and_saveexec_b32 s40, s19
	s_cbranch_execz .LBB60_53
.LBB60_85:                              ;   in Loop: Header=BB60_33 Depth=1
	ds_load_b32 v2, v3 offset:32920
	s_wait_dscnt 0x0
	v_add_nc_u32_e32 v10, v10, v2
	s_or_b32 exec_lo, exec_lo, s40
	s_and_saveexec_b32 s40, s20
	s_cbranch_execz .LBB60_54
.LBB60_86:                              ;   in Loop: Header=BB60_33 Depth=1
	ds_load_b32 v2, v3 offset:32928
	s_wait_dscnt 0x0
	v_add_nc_u32_e32 v10, v10, v2
	s_or_b32 exec_lo, exec_lo, s40
	s_and_saveexec_b32 s40, s21
	s_cbranch_execz .LBB60_55
.LBB60_87:                              ;   in Loop: Header=BB60_33 Depth=1
	ds_load_b32 v2, v3 offset:32936
	s_wait_dscnt 0x0
	v_add_nc_u32_e32 v10, v10, v2
	s_or_b32 exec_lo, exec_lo, s40
	s_and_saveexec_b32 s40, s22
	s_cbranch_execz .LBB60_56
.LBB60_88:                              ;   in Loop: Header=BB60_33 Depth=1
	ds_load_b32 v2, v3 offset:32944
	s_wait_dscnt 0x0
	v_add_nc_u32_e32 v10, v10, v2
	s_or_b32 exec_lo, exec_lo, s40
	s_and_saveexec_b32 s40, s23
	s_cbranch_execz .LBB60_57
.LBB60_89:                              ;   in Loop: Header=BB60_33 Depth=1
	ds_load_b32 v2, v3 offset:32952
	s_wait_dscnt 0x0
	v_add_nc_u32_e32 v10, v10, v2
	s_or_b32 exec_lo, exec_lo, s40
	s_and_saveexec_b32 s40, s24
	s_cbranch_execz .LBB60_58
.LBB60_90:                              ;   in Loop: Header=BB60_33 Depth=1
	ds_load_b32 v2, v3 offset:32960
	s_wait_dscnt 0x0
	v_add_nc_u32_e32 v10, v10, v2
	s_or_b32 exec_lo, exec_lo, s40
	s_and_saveexec_b32 s40, s25
	s_cbranch_execz .LBB60_59
.LBB60_91:                              ;   in Loop: Header=BB60_33 Depth=1
	ds_load_b32 v2, v3 offset:32968
	s_wait_dscnt 0x0
	v_add_nc_u32_e32 v10, v10, v2
	s_or_b32 exec_lo, exec_lo, s40
	s_and_saveexec_b32 s40, s26
	s_cbranch_execz .LBB60_60
.LBB60_92:                              ;   in Loop: Header=BB60_33 Depth=1
	ds_load_b32 v2, v3 offset:32976
	s_wait_dscnt 0x0
	v_add_nc_u32_e32 v10, v10, v2
	s_or_b32 exec_lo, exec_lo, s40
	s_and_saveexec_b32 s40, s27
	s_cbranch_execz .LBB60_61
.LBB60_93:                              ;   in Loop: Header=BB60_33 Depth=1
	ds_load_b32 v2, v3 offset:32984
	s_wait_dscnt 0x0
	v_add_nc_u32_e32 v10, v10, v2
	s_or_b32 exec_lo, exec_lo, s40
	s_and_saveexec_b32 s40, s28
	s_cbranch_execz .LBB60_62
.LBB60_94:                              ;   in Loop: Header=BB60_33 Depth=1
	ds_load_b32 v2, v3 offset:32992
	s_wait_dscnt 0x0
	v_add_nc_u32_e32 v10, v10, v2
	s_or_b32 exec_lo, exec_lo, s40
	s_and_saveexec_b32 s40, s29
	s_cbranch_execz .LBB60_63
.LBB60_95:                              ;   in Loop: Header=BB60_33 Depth=1
	ds_load_b32 v2, v3 offset:33000
	s_wait_dscnt 0x0
	v_add_nc_u32_e32 v10, v10, v2
	s_or_b32 exec_lo, exec_lo, s40
	s_and_saveexec_b32 s40, s30
	s_cbranch_execz .LBB60_64
.LBB60_96:                              ;   in Loop: Header=BB60_33 Depth=1
	ds_load_b32 v2, v3 offset:33008
	s_wait_dscnt 0x0
	v_add_nc_u32_e32 v10, v10, v2
	s_or_b32 exec_lo, exec_lo, s40
	s_delay_alu instid0(VALU_DEP_1)
	v_ashrrev_i32_e32 v11, 31, v10
	s_and_saveexec_b32 s40, s31
	s_cbranch_execz .LBB60_65
.LBB60_97:                              ;   in Loop: Header=BB60_33 Depth=1
	v_lshlrev_b32_e32 v2, 3, v6
	v_lshlrev_b32_e32 v5, 3, v10
	s_delay_alu instid0(VALU_DEP_2) | instskip(NEXT) | instid1(VALU_DEP_1)
	v_add_nc_u32_e32 v2, 0, v2
	v_add3_u32 v2, v2, v5, -8
	ds_store_b64 v2, v[8:9]
	s_or_b32 exec_lo, exec_lo, s40
	s_and_saveexec_b32 s31, vcc_lo
	s_cbranch_execz .LBB60_32
.LBB60_98:                              ;   in Loop: Header=BB60_33 Depth=1
	ds_store_b64 v3, v[10:11] offset:33016
	s_branch .LBB60_32
.LBB60_99:
	s_or_b32 exec_lo, exec_lo, s33
	s_wait_kmcnt 0x0
	s_lshl_b64 s[0:1], s[38:39], 3
	v_mov_b32_e32 v1, 0
	s_add_nc_u64 s[4:5], s[50:51], s[0:1]
	s_mov_b32 s6, exec_lo
	s_load_b128 s[0:3], s[4:5], 0x0
	s_wait_kmcnt 0x0
	s_sub_nc_u64 s[4:5], s[2:3], s[0:1]
	s_delay_alu instid0(SALU_CYCLE_1)
	v_cmpx_gt_i64_e64 s[4:5], v[0:1]
	s_cbranch_execz .LBB60_109
; %bb.100:
	s_sub_nc_u64 s[8:9], s[0:1], s[2:3]
	s_and_b64 s[6:7], s[4:5], 7
	v_cmp_lt_u64_e64 s10, s[8:9], -7
	s_and_b64 s[2:3], s[4:5], -8
	s_mov_b32 s47, 0
	s_cmp_lg_u64 s[6:7], 0
	s_sub_nc_u64 s[0:1], s[0:1], s[46:47]
	s_cselect_b32 s11, -1, 0
	s_mov_b32 s12, s47
	s_branch .LBB60_102
.LBB60_101:                             ;   in Loop: Header=BB60_102 Depth=1
	v_add_nc_u64_e32 v[0:1], 0x400, v[0:1]
	s_wait_dscnt 0x0
	v_add_nc_u64_e32 v[2:3], s[46:47], v[2:3]
	s_delay_alu instid0(VALU_DEP_3) | instskip(NEXT) | instid1(VALU_DEP_3)
	v_lshl_add_u64 v[4:5], v[4:5], 3, s[34:35]
	v_cmp_le_i64_e32 vcc_lo, s[4:5], v[0:1]
	global_store_b64 v[4:5], v[2:3], off
	s_or_b32 s12, vcc_lo, s12
	s_wait_xcnt 0x0
	s_and_not1_b32 exec_lo, exec_lo, s12
	s_cbranch_execz .LBB60_109
.LBB60_102:                             ; =>This Loop Header: Depth=1
                                        ;     Child Loop BB60_104 Depth 2
                                        ;     Child Loop BB60_108 Depth 2
	v_lshl_add_u32 v2, v0, 3, 0
	v_mov_b64_e32 v[4:5], s[0:1]
	s_and_not1_b32 vcc_lo, exec_lo, s10
	s_mov_b64 s[8:9], 0
	ds_load_b64 v[2:3], v2
	s_cbranch_vccnz .LBB60_106
; %bb.103:                              ;   in Loop: Header=BB60_102 Depth=1
	v_mov_b64_e32 v[4:5], s[0:1]
	s_mov_b32 s13, 0
.LBB60_104:                             ;   Parent Loop BB60_102 Depth=1
                                        ; =>  This Inner Loop Header: Depth=2
	s_delay_alu instid0(SALU_CYCLE_1)
	v_dual_mov_b32 v18, s13 :: v_dual_mov_b32 v15, s47
	v_mov_b32_e32 v17, s47
	s_add_nc_u64 s[8:9], s[8:9], 8
	s_add_co_i32 s13, s13, 64
	ds_load_2addr_b64 v[6:9], v18 offset1:1
	ds_load_2addr_b64 v[10:13], v18 offset0:2 offset1:3
	s_cmp_eq_u64 s[2:3], s[8:9]
	s_wait_dscnt 0x1
	v_cmp_gt_i64_e32 vcc_lo, v[2:3], v[6:7]
	v_cndmask_b32_e64 v14, 0, 1, vcc_lo
	v_cmp_gt_i64_e32 vcc_lo, v[2:3], v[8:9]
	s_delay_alu instid0(VALU_DEP_2) | instskip(SKIP_4) | instid1(VALU_DEP_2)
	v_add_nc_u64_e32 v[8:9], v[4:5], v[14:15]
	ds_load_2addr_b64 v[4:7], v18 offset0:4 offset1:5
	v_cndmask_b32_e64 v16, 0, 1, vcc_lo
	s_wait_dscnt 0x1
	v_cmp_gt_i64_e32 vcc_lo, v[2:3], v[10:11]
	v_add_nc_u64_e32 v[8:9], v[8:9], v[16:17]
	v_cndmask_b32_e64 v14, 0, 1, vcc_lo
	v_cmp_gt_i64_e32 vcc_lo, v[2:3], v[12:13]
	s_delay_alu instid0(VALU_DEP_2)
	v_add_nc_u64_e32 v[12:13], v[8:9], v[14:15]
	ds_load_2addr_b64 v[8:11], v18 offset0:6 offset1:7
	v_cndmask_b32_e64 v16, 0, 1, vcc_lo
	s_wait_dscnt 0x1
	v_cmp_gt_i64_e32 vcc_lo, v[2:3], v[4:5]
	v_mov_b32_e32 v5, s47
	s_delay_alu instid0(VALU_DEP_3) | instskip(SKIP_3) | instid1(VALU_DEP_3)
	v_add_nc_u64_e32 v[12:13], v[12:13], v[16:17]
	v_cndmask_b32_e64 v14, 0, 1, vcc_lo
	v_cmp_gt_i64_e32 vcc_lo, v[2:3], v[6:7]
	v_mov_b32_e32 v7, s47
	v_add_nc_u64_e32 v[12:13], v[12:13], v[14:15]
	v_cndmask_b32_e64 v4, 0, 1, vcc_lo
	s_wait_dscnt 0x0
	v_cmp_gt_i64_e32 vcc_lo, v[2:3], v[8:9]
	v_mov_b32_e32 v9, s47
	s_delay_alu instid0(VALU_DEP_3) | instskip(SKIP_2) | instid1(VALU_DEP_2)
	v_add_nc_u64_e32 v[4:5], v[12:13], v[4:5]
	v_cndmask_b32_e64 v6, 0, 1, vcc_lo
	v_cmp_gt_i64_e32 vcc_lo, v[2:3], v[10:11]
	v_add_nc_u64_e32 v[4:5], v[4:5], v[6:7]
	v_cndmask_b32_e64 v8, 0, 1, vcc_lo
	s_delay_alu instid0(VALU_DEP_1)
	v_add_nc_u64_e32 v[4:5], v[4:5], v[8:9]
	s_cbranch_scc0 .LBB60_104
; %bb.105:                              ;   in Loop: Header=BB60_102 Depth=1
	s_mov_b64 s[8:9], s[2:3]
.LBB60_106:                             ;   in Loop: Header=BB60_102 Depth=1
	s_and_not1_b32 vcc_lo, exec_lo, s11
	s_cbranch_vccnz .LBB60_101
; %bb.107:                              ;   in Loop: Header=BB60_102 Depth=1
	s_lshl_b32 s8, s8, 3
	s_delay_alu instid0(SALU_CYCLE_1)
	s_add_co_i32 s13, s8, 0
	s_mov_b64 s[8:9], s[6:7]
.LBB60_108:                             ;   Parent Loop BB60_102 Depth=1
                                        ; =>  This Inner Loop Header: Depth=2
	v_dual_mov_b32 v6, s13 :: v_dual_mov_b32 v9, s47
	s_add_nc_u64 s[8:9], s[8:9], -1
	s_add_co_i32 s13, s13, 8
	s_cmp_lg_u64 s[8:9], 0
	ds_load_b64 v[6:7], v6
	s_wait_dscnt 0x0
	v_cmp_gt_i64_e32 vcc_lo, v[2:3], v[6:7]
	v_cndmask_b32_e64 v8, 0, 1, vcc_lo
	s_delay_alu instid0(VALU_DEP_1)
	v_add_nc_u64_e32 v[4:5], v[4:5], v[8:9]
	s_cbranch_scc1 .LBB60_108
	s_branch .LBB60_101
.LBB60_109:
	s_endpgm
	.section	.rodata,"a",@progbits
	.p2align	6, 0x0
	.amdhsa_kernel _ZN9rocsparseL35csrgemm_symbolic_fill_block_per_rowILj1024ELj64ELj4096ELj137ELj32EllEEvT5_PKS1_S3_PKT4_S3_S6_S3_S6_S3_S6_PS1_21rocsparse_index_base_S8_S8_S8_bb
		.amdhsa_group_segment_fixed_size 0
		.amdhsa_private_segment_fixed_size 0
		.amdhsa_kernarg_size 108
		.amdhsa_user_sgpr_count 2
		.amdhsa_user_sgpr_dispatch_ptr 0
		.amdhsa_user_sgpr_queue_ptr 0
		.amdhsa_user_sgpr_kernarg_segment_ptr 1
		.amdhsa_user_sgpr_dispatch_id 0
		.amdhsa_user_sgpr_kernarg_preload_length 0
		.amdhsa_user_sgpr_kernarg_preload_offset 0
		.amdhsa_user_sgpr_private_segment_size 0
		.amdhsa_wavefront_size32 1
		.amdhsa_uses_dynamic_stack 0
		.amdhsa_enable_private_segment 0
		.amdhsa_system_sgpr_workgroup_id_x 1
		.amdhsa_system_sgpr_workgroup_id_y 0
		.amdhsa_system_sgpr_workgroup_id_z 0
		.amdhsa_system_sgpr_workgroup_info 0
		.amdhsa_system_vgpr_workitem_id 0
		.amdhsa_next_free_vgpr 19
		.amdhsa_next_free_sgpr 52
		.amdhsa_named_barrier_count 0
		.amdhsa_reserve_vcc 1
		.amdhsa_float_round_mode_32 0
		.amdhsa_float_round_mode_16_64 0
		.amdhsa_float_denorm_mode_32 3
		.amdhsa_float_denorm_mode_16_64 3
		.amdhsa_fp16_overflow 0
		.amdhsa_memory_ordered 1
		.amdhsa_forward_progress 1
		.amdhsa_inst_pref_size 28
		.amdhsa_round_robin_scheduling 0
		.amdhsa_exception_fp_ieee_invalid_op 0
		.amdhsa_exception_fp_denorm_src 0
		.amdhsa_exception_fp_ieee_div_zero 0
		.amdhsa_exception_fp_ieee_overflow 0
		.amdhsa_exception_fp_ieee_underflow 0
		.amdhsa_exception_fp_ieee_inexact 0
		.amdhsa_exception_int_div_zero 0
	.end_amdhsa_kernel
	.section	.text._ZN9rocsparseL35csrgemm_symbolic_fill_block_per_rowILj1024ELj64ELj4096ELj137ELj32EllEEvT5_PKS1_S3_PKT4_S3_S6_S3_S6_S3_S6_PS1_21rocsparse_index_base_S8_S8_S8_bb,"axG",@progbits,_ZN9rocsparseL35csrgemm_symbolic_fill_block_per_rowILj1024ELj64ELj4096ELj137ELj32EllEEvT5_PKS1_S3_PKT4_S3_S6_S3_S6_S3_S6_PS1_21rocsparse_index_base_S8_S8_S8_bb,comdat
.Lfunc_end60:
	.size	_ZN9rocsparseL35csrgemm_symbolic_fill_block_per_rowILj1024ELj64ELj4096ELj137ELj32EllEEvT5_PKS1_S3_PKT4_S3_S6_S3_S6_S3_S6_PS1_21rocsparse_index_base_S8_S8_S8_bb, .Lfunc_end60-_ZN9rocsparseL35csrgemm_symbolic_fill_block_per_rowILj1024ELj64ELj4096ELj137ELj32EllEEvT5_PKS1_S3_PKT4_S3_S6_S3_S6_S3_S6_PS1_21rocsparse_index_base_S8_S8_S8_bb
                                        ; -- End function
	.set _ZN9rocsparseL35csrgemm_symbolic_fill_block_per_rowILj1024ELj64ELj4096ELj137ELj32EllEEvT5_PKS1_S3_PKT4_S3_S6_S3_S6_S3_S6_PS1_21rocsparse_index_base_S8_S8_S8_bb.num_vgpr, 19
	.set _ZN9rocsparseL35csrgemm_symbolic_fill_block_per_rowILj1024ELj64ELj4096ELj137ELj32EllEEvT5_PKS1_S3_PKT4_S3_S6_S3_S6_S3_S6_PS1_21rocsparse_index_base_S8_S8_S8_bb.num_agpr, 0
	.set _ZN9rocsparseL35csrgemm_symbolic_fill_block_per_rowILj1024ELj64ELj4096ELj137ELj32EllEEvT5_PKS1_S3_PKT4_S3_S6_S3_S6_S3_S6_PS1_21rocsparse_index_base_S8_S8_S8_bb.numbered_sgpr, 52
	.set _ZN9rocsparseL35csrgemm_symbolic_fill_block_per_rowILj1024ELj64ELj4096ELj137ELj32EllEEvT5_PKS1_S3_PKT4_S3_S6_S3_S6_S3_S6_PS1_21rocsparse_index_base_S8_S8_S8_bb.num_named_barrier, 0
	.set _ZN9rocsparseL35csrgemm_symbolic_fill_block_per_rowILj1024ELj64ELj4096ELj137ELj32EllEEvT5_PKS1_S3_PKT4_S3_S6_S3_S6_S3_S6_PS1_21rocsparse_index_base_S8_S8_S8_bb.private_seg_size, 0
	.set _ZN9rocsparseL35csrgemm_symbolic_fill_block_per_rowILj1024ELj64ELj4096ELj137ELj32EllEEvT5_PKS1_S3_PKT4_S3_S6_S3_S6_S3_S6_PS1_21rocsparse_index_base_S8_S8_S8_bb.uses_vcc, 1
	.set _ZN9rocsparseL35csrgemm_symbolic_fill_block_per_rowILj1024ELj64ELj4096ELj137ELj32EllEEvT5_PKS1_S3_PKT4_S3_S6_S3_S6_S3_S6_PS1_21rocsparse_index_base_S8_S8_S8_bb.uses_flat_scratch, 0
	.set _ZN9rocsparseL35csrgemm_symbolic_fill_block_per_rowILj1024ELj64ELj4096ELj137ELj32EllEEvT5_PKS1_S3_PKT4_S3_S6_S3_S6_S3_S6_PS1_21rocsparse_index_base_S8_S8_S8_bb.has_dyn_sized_stack, 0
	.set _ZN9rocsparseL35csrgemm_symbolic_fill_block_per_rowILj1024ELj64ELj4096ELj137ELj32EllEEvT5_PKS1_S3_PKT4_S3_S6_S3_S6_S3_S6_PS1_21rocsparse_index_base_S8_S8_S8_bb.has_recursion, 0
	.set _ZN9rocsparseL35csrgemm_symbolic_fill_block_per_rowILj1024ELj64ELj4096ELj137ELj32EllEEvT5_PKS1_S3_PKT4_S3_S6_S3_S6_S3_S6_PS1_21rocsparse_index_base_S8_S8_S8_bb.has_indirect_call, 0
	.section	.AMDGPU.csdata,"",@progbits
; Kernel info:
; codeLenInByte = 3576
; TotalNumSgprs: 54
; NumVgprs: 19
; ScratchSize: 0
; MemoryBound: 0
; FloatMode: 240
; IeeeMode: 1
; LDSByteSize: 0 bytes/workgroup (compile time only)
; SGPRBlocks: 0
; VGPRBlocks: 1
; NumSGPRsForWavesPerEU: 54
; NumVGPRsForWavesPerEU: 19
; NamedBarCnt: 0
; Occupancy: 16
; WaveLimiterHint : 1
; COMPUTE_PGM_RSRC2:SCRATCH_EN: 0
; COMPUTE_PGM_RSRC2:USER_SGPR: 2
; COMPUTE_PGM_RSRC2:TRAP_HANDLER: 0
; COMPUTE_PGM_RSRC2:TGID_X_EN: 1
; COMPUTE_PGM_RSRC2:TGID_Y_EN: 0
; COMPUTE_PGM_RSRC2:TGID_Z_EN: 0
; COMPUTE_PGM_RSRC2:TIDIG_COMP_CNT: 0
	.section	.text._ZN9rocsparseL35csrgemm_symbolic_fill_block_per_rowILj1024ELj64ELj4096ELj137ELj64EllEEvT5_PKS1_S3_PKT4_S3_S6_S3_S6_S3_S6_PS1_21rocsparse_index_base_S8_S8_S8_bb,"axG",@progbits,_ZN9rocsparseL35csrgemm_symbolic_fill_block_per_rowILj1024ELj64ELj4096ELj137ELj64EllEEvT5_PKS1_S3_PKT4_S3_S6_S3_S6_S3_S6_PS1_21rocsparse_index_base_S8_S8_S8_bb,comdat
	.globl	_ZN9rocsparseL35csrgemm_symbolic_fill_block_per_rowILj1024ELj64ELj4096ELj137ELj64EllEEvT5_PKS1_S3_PKT4_S3_S6_S3_S6_S3_S6_PS1_21rocsparse_index_base_S8_S8_S8_bb ; -- Begin function _ZN9rocsparseL35csrgemm_symbolic_fill_block_per_rowILj1024ELj64ELj4096ELj137ELj64EllEEvT5_PKS1_S3_PKT4_S3_S6_S3_S6_S3_S6_PS1_21rocsparse_index_base_S8_S8_S8_bb
	.p2align	8
	.type	_ZN9rocsparseL35csrgemm_symbolic_fill_block_per_rowILj1024ELj64ELj4096ELj137ELj64EllEEvT5_PKS1_S3_PKT4_S3_S6_S3_S6_S3_S6_PS1_21rocsparse_index_base_S8_S8_S8_bb,@function
_ZN9rocsparseL35csrgemm_symbolic_fill_block_per_rowILj1024ELj64ELj4096ELj137ELj64EllEEvT5_PKS1_S3_PKT4_S3_S6_S3_S6_S3_S6_PS1_21rocsparse_index_base_S8_S8_S8_bb: ; @_ZN9rocsparseL35csrgemm_symbolic_fill_block_per_rowILj1024ELj64ELj4096ELj137ELj64EllEEvT5_PKS1_S3_PKT4_S3_S6_S3_S6_S3_S6_PS1_21rocsparse_index_base_S8_S8_S8_bb
; %bb.0:
	s_clause 0x3
	s_load_b256 s[16:23], s[0:1], 0x0
	s_load_b64 s[34:35], s[0:1], 0x50
	s_load_b128 s[28:31], s[0:1], 0x40
	s_load_b256 s[4:11], s[0:1], 0x20
	v_lshl_add_u32 v15, v0, 3, 0
	v_or_b32_e32 v18, 0xfffffc00, v0
	s_mov_b32 s2, 0
	s_delay_alu instid0(VALU_DEP_1)
	v_dual_mov_b32 v1, v15 :: v_dual_mov_b32 v4, v18
	s_wait_kmcnt 0x0
	v_mov_b64_e32 v[2:3], s[16:17]
.LBB61_1:                               ; =>This Inner Loop Header: Depth=1
	s_delay_alu instid0(VALU_DEP_2) | instskip(SKIP_4) | instid1(SALU_CYCLE_1)
	v_add_nc_u32_e32 v4, 0x400, v4
	ds_store_b64 v1, v[2:3]
	v_add_nc_u32_e32 v1, 0x2000, v1
	v_cmp_lt_u32_e32 vcc_lo, 0xbff, v4
	s_or_b32 s2, vcc_lo, s2
	s_and_not1_b32 exec_lo, exec_lo, s2
	s_cbranch_execnz .LBB61_1
; %bb.2:
	s_or_b32 exec_lo, exec_lo, s2
	s_load_b32 s14, s[0:1], 0x68
	s_wait_dscnt 0x0
	s_barrier_signal -1
	s_barrier_wait -1
	s_load_b64 s[2:3], s[18:19], 0x0
	s_wait_xcnt 0x0
	s_getreg_b32 s18, hwreg(HW_REG_IB_STS2, 6, 4)
	v_lshrrev_b32_e32 v2, 6, v0
	s_wait_kmcnt 0x0
	s_bitcmp1_b32 s14, 0
	s_cselect_b32 s12, -1, 0
	s_bfe_u32 s13, ttmp6, 0x4000c
	s_and_b32 s15, ttmp6, 15
	s_add_co_i32 s13, s13, 1
	s_lshl_b64 s[2:3], s[2:3], 3
	s_mul_i32 s13, ttmp9, s13
	s_add_nc_u64 s[2:3], s[20:21], s[2:3]
	s_add_co_i32 s15, s15, s13
	s_cmp_eq_u32 s18, 0
	s_cselect_b32 s13, ttmp9, s15
	s_load_b128 s[24:27], s[0:1], 0x58
	s_load_b64 s[18:19], s[2:3], s13 offset:0x0 scale_offset
	s_and_b32 vcc_lo, exec_lo, s12
	s_wait_xcnt 0x0
	s_mov_b32 s1, 0
	s_cbranch_vccz .LBB61_18
; %bb.3:
	s_wait_kmcnt 0x0
	s_lshl_b64 s[2:3], s[18:19], 3
	v_mov_b32_e32 v3, 0
	s_add_nc_u64 s[2:3], s[22:23], s[2:3]
	s_mov_b32 s0, s24
	s_load_b128 s[20:23], s[2:3], 0x0
	s_mov_b32 s15, exec_lo
	v_sub_nc_u64_e64 v[4:5], v[2:3], s[0:1]
	s_wait_kmcnt 0x0
	s_delay_alu instid0(VALU_DEP_1)
	v_add_nc_u64_e32 v[4:5], s[20:21], v[4:5]
	s_sub_nc_u64 s[2:3], s[22:23], s[0:1]
	s_delay_alu instid0(VALU_DEP_1) | instid1(SALU_CYCLE_1)
	v_cmpx_gt_i64_e64 s[2:3], v[4:5]
	s_cbranch_execz .LBB61_17
; %bb.4:
	v_dual_mov_b32 v7, v3 :: v_dual_bitop2_b32 v6, 63, v0 bitop3:0x40
	s_mov_b32 s13, 0
	s_mov_b32 s12, s25
	;; [unrolled: 1-line block ×3, first 2 shown]
	s_delay_alu instid0(VALU_DEP_1)
	v_sub_nc_u64_e64 v[6:7], v[6:7], s[12:13]
	s_branch .LBB61_6
.LBB61_5:                               ;   in Loop: Header=BB61_6 Depth=1
	s_or_b32 exec_lo, exec_lo, s21
	v_add_nc_u64_e32 v[4:5], 16, v[4:5]
	s_delay_alu instid0(VALU_DEP_1) | instskip(SKIP_1) | instid1(SALU_CYCLE_1)
	v_cmp_le_i64_e32 vcc_lo, s[2:3], v[4:5]
	s_or_b32 s20, vcc_lo, s20
	s_and_not1_b32 exec_lo, exec_lo, s20
	s_cbranch_execz .LBB61_17
.LBB61_6:                               ; =>This Loop Header: Depth=1
                                        ;     Child Loop BB61_9 Depth 2
                                        ;       Child Loop BB61_12 Depth 3
	v_lshl_add_u64 v[8:9], v[4:5], 3, s[4:5]
	s_mov_b32 s21, exec_lo
	global_load_b64 v[8:9], v[8:9], off
	s_wait_loadcnt 0x0
	v_sub_nc_u64_e64 v[8:9], v[8:9], s[0:1]
	s_delay_alu instid0(VALU_DEP_1) | instskip(SKIP_4) | instid1(VALU_DEP_1)
	v_lshl_add_u64 v[8:9], v[8:9], 3, s[6:7]
	global_load_b128 v[10:13], v[8:9], off
	s_wait_loadcnt 0x0
	v_sub_nc_u64_e64 v[8:9], v[12:13], s[12:13]
	v_add_nc_u64_e32 v[10:11], v[10:11], v[6:7]
	v_cmpx_lt_i64_e64 v[10:11], v[8:9]
	s_cbranch_execz .LBB61_5
; %bb.7:                                ;   in Loop: Header=BB61_6 Depth=1
	s_mov_b32 s22, 0
	s_branch .LBB61_9
.LBB61_8:                               ;   in Loop: Header=BB61_9 Depth=2
	s_or_b32 exec_lo, exec_lo, s23
	v_add_nc_u64_e32 v[10:11], 64, v[10:11]
	s_delay_alu instid0(VALU_DEP_1) | instskip(SKIP_1) | instid1(SALU_CYCLE_1)
	v_cmp_ge_i64_e32 vcc_lo, v[10:11], v[8:9]
	s_or_b32 s22, vcc_lo, s22
	s_and_not1_b32 exec_lo, exec_lo, s22
	s_cbranch_execz .LBB61_5
.LBB61_9:                               ;   Parent Loop BB61_6 Depth=1
                                        ; =>  This Loop Header: Depth=2
                                        ;       Child Loop BB61_12 Depth 3
	v_lshl_add_u64 v[12:13], v[10:11], 3, s[8:9]
	s_mov_b32 s23, 0
                                        ; implicit-def: $sgpr24
	global_load_b64 v[12:13], v[12:13], off
	s_wait_loadcnt 0x0
	v_sub_nc_u64_e64 v[12:13], v[12:13], s[12:13]
	s_delay_alu instid0(VALU_DEP_1) | instskip(NEXT) | instid1(VALU_DEP_1)
	v_mul_lo_u32 v1, 0x89, v12
	v_and_b32_e32 v14, 0xfff, v1
	s_branch .LBB61_12
.LBB61_10:                              ;   in Loop: Header=BB61_12 Depth=3
	s_or_b32 exec_lo, exec_lo, s33
	s_delay_alu instid0(SALU_CYCLE_1) | instskip(SKIP_1) | instid1(SALU_CYCLE_1)
	s_and_not1_b32 s24, s24, exec_lo
	s_and_b32 s33, s36, exec_lo
	s_or_b32 s24, s24, s33
.LBB61_11:                              ;   in Loop: Header=BB61_12 Depth=3
	s_or_b32 exec_lo, exec_lo, s25
	s_xor_b32 s25, s24, -1
	s_delay_alu instid0(SALU_CYCLE_1) | instskip(NEXT) | instid1(SALU_CYCLE_1)
	s_and_b32 s25, exec_lo, s25
	s_or_b32 s23, s25, s23
	s_delay_alu instid0(SALU_CYCLE_1)
	s_and_not1_b32 exec_lo, exec_lo, s23
	s_cbranch_execz .LBB61_8
.LBB61_12:                              ;   Parent Loop BB61_6 Depth=1
                                        ;     Parent Loop BB61_9 Depth=2
                                        ; =>    This Inner Loop Header: Depth=3
	s_delay_alu instid0(VALU_DEP_1)
	v_lshl_add_u32 v1, v14, 3, 0
	s_and_not1_b32 s24, s24, exec_lo
	s_mov_b32 s25, exec_lo
	ds_load_b64 v[16:17], v1
	s_wait_dscnt 0x0
	v_cmpx_ne_u64_e64 v[16:17], v[12:13]
	s_cbranch_execz .LBB61_11
; %bb.13:                               ;   in Loop: Header=BB61_12 Depth=3
	s_mov_b32 s33, exec_lo
	v_cmpx_ne_u64_e64 s[16:17], v[16:17]
	s_xor_b32 s33, exec_lo, s33
; %bb.14:                               ;   in Loop: Header=BB61_12 Depth=3
	v_add_nc_u32_e32 v1, 1, v14
	s_delay_alu instid0(VALU_DEP_1)
	v_and_b32_e32 v14, 0xfff, v1
                                        ; implicit-def: $vgpr1
; %bb.15:                               ;   in Loop: Header=BB61_12 Depth=3
	s_or_saveexec_b32 s33, s33
	s_mov_b32 s36, -1
	s_xor_b32 exec_lo, exec_lo, s33
	s_cbranch_execz .LBB61_10
; %bb.16:                               ;   in Loop: Header=BB61_12 Depth=3
	v_mov_b64_e32 v[16:17], s[16:17]
	ds_cmpstore_rtn_b64 v[16:17], v1, v[12:13], v[16:17]
	s_wait_dscnt 0x0
	v_cmp_ne_u64_e32 vcc_lo, s[16:17], v[16:17]
	s_or_not1_b32 s36, vcc_lo, exec_lo
	s_branch .LBB61_10
.LBB61_17:
	s_or_b32 exec_lo, exec_lo, s15
.LBB61_18:
	s_bfe_u32 s0, s14, 0x10008
	s_delay_alu instid0(SALU_CYCLE_1)
	s_cmp_eq_u32 s0, 0
	s_cbranch_scc1 .LBB61_31
; %bb.19:
	s_wait_kmcnt 0x0
	s_lshl_b64 s[0:1], s[18:19], 3
	v_mov_b32_e32 v1, 0
	s_add_nc_u64 s[0:1], s[10:11], s[0:1]
	s_load_b128 s[4:7], s[0:1], 0x0
	s_wait_xcnt 0x0
	s_mov_b32 s1, 0
	s_mov_b32 s0, s27
	s_delay_alu instid0(SALU_CYCLE_1) | instskip(SKIP_1) | instid1(VALU_DEP_1)
	v_sub_nc_u64_e64 v[4:5], v[0:1], s[0:1]
	s_wait_kmcnt 0x0
	v_add_nc_u64_e32 v[4:5], s[4:5], v[4:5]
	s_sub_nc_u64 s[2:3], s[6:7], s[0:1]
	s_mov_b32 s4, exec_lo
	s_delay_alu instid0(VALU_DEP_1)
	v_cmpx_gt_i64_e64 s[2:3], v[4:5]
	s_cbranch_execz .LBB61_30
; %bb.20:
	s_mov_b32 s5, s1
	s_branch .LBB61_22
.LBB61_21:                              ;   in Loop: Header=BB61_22 Depth=1
	s_or_b32 exec_lo, exec_lo, s6
	v_add_nc_u64_e32 v[4:5], 0x400, v[4:5]
	s_delay_alu instid0(VALU_DEP_1) | instskip(SKIP_1) | instid1(SALU_CYCLE_1)
	v_cmp_le_i64_e32 vcc_lo, s[2:3], v[4:5]
	s_or_b32 s5, vcc_lo, s5
	s_and_not1_b32 exec_lo, exec_lo, s5
	s_cbranch_execz .LBB61_30
.LBB61_22:                              ; =>This Loop Header: Depth=1
                                        ;     Child Loop BB61_25 Depth 2
	v_lshl_add_u64 v[6:7], v[4:5], 3, s[28:29]
	s_mov_b32 s6, 0
                                        ; implicit-def: $sgpr7
	global_load_b64 v[6:7], v[6:7], off
	s_wait_loadcnt 0x0
	v_sub_nc_u64_e64 v[6:7], v[6:7], s[0:1]
	s_delay_alu instid0(VALU_DEP_1) | instskip(NEXT) | instid1(VALU_DEP_1)
	v_mul_lo_u32 v1, 0x89, v6
	v_and_b32_e32 v8, 0xfff, v1
	s_branch .LBB61_25
.LBB61_23:                              ;   in Loop: Header=BB61_25 Depth=2
	s_or_b32 exec_lo, exec_lo, s9
	s_delay_alu instid0(SALU_CYCLE_1) | instskip(SKIP_1) | instid1(SALU_CYCLE_1)
	s_and_not1_b32 s7, s7, exec_lo
	s_and_b32 s9, s10, exec_lo
	s_or_b32 s7, s7, s9
.LBB61_24:                              ;   in Loop: Header=BB61_25 Depth=2
	s_or_b32 exec_lo, exec_lo, s8
	s_xor_b32 s8, s7, -1
	s_delay_alu instid0(SALU_CYCLE_1) | instskip(NEXT) | instid1(SALU_CYCLE_1)
	s_and_b32 s8, exec_lo, s8
	s_or_b32 s6, s8, s6
	s_delay_alu instid0(SALU_CYCLE_1)
	s_and_not1_b32 exec_lo, exec_lo, s6
	s_cbranch_execz .LBB61_21
.LBB61_25:                              ;   Parent Loop BB61_22 Depth=1
                                        ; =>  This Inner Loop Header: Depth=2
	s_delay_alu instid0(VALU_DEP_1)
	v_lshl_add_u32 v1, v8, 3, 0
	s_and_not1_b32 s7, s7, exec_lo
	s_mov_b32 s8, exec_lo
	ds_load_b64 v[10:11], v1
	s_wait_dscnt 0x0
	v_cmpx_ne_u64_e64 v[10:11], v[6:7]
	s_cbranch_execz .LBB61_24
; %bb.26:                               ;   in Loop: Header=BB61_25 Depth=2
	s_mov_b32 s9, exec_lo
	v_cmpx_ne_u64_e64 s[16:17], v[10:11]
	s_xor_b32 s9, exec_lo, s9
; %bb.27:                               ;   in Loop: Header=BB61_25 Depth=2
	v_add_nc_u32_e32 v1, 1, v8
	s_delay_alu instid0(VALU_DEP_1)
	v_and_b32_e32 v8, 0xfff, v1
                                        ; implicit-def: $vgpr1
; %bb.28:                               ;   in Loop: Header=BB61_25 Depth=2
	s_or_saveexec_b32 s9, s9
	s_mov_b32 s10, -1
	s_xor_b32 exec_lo, exec_lo, s9
	s_cbranch_execz .LBB61_23
; %bb.29:                               ;   in Loop: Header=BB61_25 Depth=2
	v_mov_b64_e32 v[10:11], s[16:17]
	ds_cmpstore_rtn_b64 v[10:11], v1, v[6:7], v[10:11]
	s_wait_dscnt 0x0
	v_cmp_ne_u64_e32 vcc_lo, s[16:17], v[10:11]
	s_or_not1_b32 s10, vcc_lo, exec_lo
	s_branch .LBB61_23
.LBB61_30:
	s_or_b32 exec_lo, exec_lo, s4
.LBB61_31:
	v_mbcnt_lo_u32_b32 v4, -1, 0
	v_mov_b32_e32 v3, 0
	v_lshl_add_u32 v1, v2, 3, 0
	v_mov_b64_e32 v[6:7], 0
	v_cmp_lt_u32_e64 s0, 63, v0
	v_xor_b32_e32 v2, 31, v4
	v_cmp_lt_u32_e64 s1, 0x7f, v0
	v_cmp_lt_u32_e64 s2, 0xbf, v0
	;; [unrolled: 1-line block ×4, first 2 shown]
	v_lshrrev_b32_e64 v4, v2, -1
	v_cmp_lt_u32_e64 s5, 0x17f, v0
	v_cmp_lt_u32_e64 s6, 0x1bf, v0
	;; [unrolled: 1-line block ×10, first 2 shown]
	s_mov_b32 s20, 0
	v_cmp_eq_u32_e32 vcc_lo, 0x3ff, v0
	s_barrier_signal -1
	s_barrier_wait -1
	s_branch .LBB61_33
.LBB61_32:                              ;   in Loop: Header=BB61_33 Depth=1
	s_or_b32 exec_lo, exec_lo, s15
	s_wait_dscnt 0x0
	s_barrier_signal -1
	s_barrier_wait -1
	ds_load_b64 v[8:9], v3 offset:32888
	v_add_nc_u32_e32 v18, 0x400, v18
	v_add_nc_u32_e32 v15, 0x2000, v15
	s_delay_alu instid0(VALU_DEP_2)
	v_cmp_lt_u32_e64 s15, 0xbff, v18
	s_or_b32 s20, s15, s20
	s_wait_dscnt 0x0
	v_add_nc_u64_e32 v[6:7], v[8:9], v[6:7]
	s_and_not1_b32 exec_lo, exec_lo, s20
	s_cbranch_execz .LBB61_67
.LBB61_33:                              ; =>This Inner Loop Header: Depth=1
	ds_load_b64 v[8:9], v15
	s_wait_dscnt 0x0
	s_barrier_signal -1
	s_barrier_wait -1
	v_cmp_gt_i64_e64 s15, s[16:17], v[8:9]
	s_bcnt1_i32_b32 s21, s15
	s_delay_alu instid0(SALU_CYCLE_1) | instskip(NEXT) | instid1(VALU_DEP_1)
	v_dual_mov_b32 v2, s21 :: v_dual_bitop2_b32 v5, s15, v4 bitop3:0x40
	v_bcnt_u32_b32 v10, v5, 0
	ds_store_b64 v1, v[2:3] offset:32768
	s_wait_dscnt 0x0
	s_barrier_signal -1
	s_barrier_wait -1
	s_and_saveexec_b32 s21, s0
	s_cbranch_execnz .LBB61_50
; %bb.34:                               ;   in Loop: Header=BB61_33 Depth=1
	s_or_b32 exec_lo, exec_lo, s21
	s_and_saveexec_b32 s21, s1
	s_cbranch_execnz .LBB61_51
.LBB61_35:                              ;   in Loop: Header=BB61_33 Depth=1
	s_or_b32 exec_lo, exec_lo, s21
	s_and_saveexec_b32 s21, s2
	s_cbranch_execnz .LBB61_52
.LBB61_36:                              ;   in Loop: Header=BB61_33 Depth=1
	s_or_b32 exec_lo, exec_lo, s21
	s_and_saveexec_b32 s21, s3
	s_cbranch_execnz .LBB61_53
.LBB61_37:                              ;   in Loop: Header=BB61_33 Depth=1
	s_or_b32 exec_lo, exec_lo, s21
	s_and_saveexec_b32 s21, s4
	s_cbranch_execnz .LBB61_54
.LBB61_38:                              ;   in Loop: Header=BB61_33 Depth=1
	s_or_b32 exec_lo, exec_lo, s21
	s_and_saveexec_b32 s21, s5
	s_cbranch_execnz .LBB61_55
.LBB61_39:                              ;   in Loop: Header=BB61_33 Depth=1
	s_or_b32 exec_lo, exec_lo, s21
	s_and_saveexec_b32 s21, s6
	s_cbranch_execnz .LBB61_56
.LBB61_40:                              ;   in Loop: Header=BB61_33 Depth=1
	s_or_b32 exec_lo, exec_lo, s21
	s_and_saveexec_b32 s21, s7
	s_cbranch_execnz .LBB61_57
.LBB61_41:                              ;   in Loop: Header=BB61_33 Depth=1
	s_or_b32 exec_lo, exec_lo, s21
	s_and_saveexec_b32 s21, s8
	s_cbranch_execnz .LBB61_58
.LBB61_42:                              ;   in Loop: Header=BB61_33 Depth=1
	s_or_b32 exec_lo, exec_lo, s21
	s_and_saveexec_b32 s21, s9
	s_cbranch_execnz .LBB61_59
.LBB61_43:                              ;   in Loop: Header=BB61_33 Depth=1
	s_or_b32 exec_lo, exec_lo, s21
	s_and_saveexec_b32 s21, s10
	s_cbranch_execnz .LBB61_60
.LBB61_44:                              ;   in Loop: Header=BB61_33 Depth=1
	s_or_b32 exec_lo, exec_lo, s21
	s_and_saveexec_b32 s21, s11
	s_cbranch_execnz .LBB61_61
.LBB61_45:                              ;   in Loop: Header=BB61_33 Depth=1
	s_or_b32 exec_lo, exec_lo, s21
	s_and_saveexec_b32 s21, s12
	s_cbranch_execnz .LBB61_62
.LBB61_46:                              ;   in Loop: Header=BB61_33 Depth=1
	s_or_b32 exec_lo, exec_lo, s21
	s_and_saveexec_b32 s21, s13
	s_cbranch_execnz .LBB61_63
.LBB61_47:                              ;   in Loop: Header=BB61_33 Depth=1
	s_or_b32 exec_lo, exec_lo, s21
	s_and_saveexec_b32 s21, s14
	s_cbranch_execnz .LBB61_64
.LBB61_48:                              ;   in Loop: Header=BB61_33 Depth=1
	s_or_b32 exec_lo, exec_lo, s21
	v_ashrrev_i32_e32 v11, 31, v10
	s_and_saveexec_b32 s21, s15
	s_cbranch_execnz .LBB61_65
.LBB61_49:                              ;   in Loop: Header=BB61_33 Depth=1
	s_or_b32 exec_lo, exec_lo, s21
	s_and_saveexec_b32 s15, vcc_lo
	s_cbranch_execz .LBB61_32
	s_branch .LBB61_66
.LBB61_50:                              ;   in Loop: Header=BB61_33 Depth=1
	ds_load_b32 v2, v3 offset:32768
	s_wait_dscnt 0x0
	v_add_nc_u32_e32 v10, v2, v10
	s_or_b32 exec_lo, exec_lo, s21
	s_and_saveexec_b32 s21, s1
	s_cbranch_execz .LBB61_35
.LBB61_51:                              ;   in Loop: Header=BB61_33 Depth=1
	ds_load_b32 v2, v3 offset:32776
	s_wait_dscnt 0x0
	v_add_nc_u32_e32 v10, v10, v2
	s_or_b32 exec_lo, exec_lo, s21
	s_and_saveexec_b32 s21, s2
	s_cbranch_execz .LBB61_36
.LBB61_52:                              ;   in Loop: Header=BB61_33 Depth=1
	ds_load_b32 v2, v3 offset:32784
	s_wait_dscnt 0x0
	v_add_nc_u32_e32 v10, v10, v2
	s_or_b32 exec_lo, exec_lo, s21
	s_and_saveexec_b32 s21, s3
	s_cbranch_execz .LBB61_37
.LBB61_53:                              ;   in Loop: Header=BB61_33 Depth=1
	ds_load_b32 v2, v3 offset:32792
	s_wait_dscnt 0x0
	v_add_nc_u32_e32 v10, v10, v2
	s_or_b32 exec_lo, exec_lo, s21
	s_and_saveexec_b32 s21, s4
	s_cbranch_execz .LBB61_38
.LBB61_54:                              ;   in Loop: Header=BB61_33 Depth=1
	ds_load_b32 v2, v3 offset:32800
	s_wait_dscnt 0x0
	v_add_nc_u32_e32 v10, v10, v2
	s_or_b32 exec_lo, exec_lo, s21
	s_and_saveexec_b32 s21, s5
	s_cbranch_execz .LBB61_39
.LBB61_55:                              ;   in Loop: Header=BB61_33 Depth=1
	ds_load_b32 v2, v3 offset:32808
	s_wait_dscnt 0x0
	v_add_nc_u32_e32 v10, v10, v2
	s_or_b32 exec_lo, exec_lo, s21
	s_and_saveexec_b32 s21, s6
	s_cbranch_execz .LBB61_40
.LBB61_56:                              ;   in Loop: Header=BB61_33 Depth=1
	ds_load_b32 v2, v3 offset:32816
	s_wait_dscnt 0x0
	v_add_nc_u32_e32 v10, v10, v2
	s_or_b32 exec_lo, exec_lo, s21
	s_and_saveexec_b32 s21, s7
	s_cbranch_execz .LBB61_41
.LBB61_57:                              ;   in Loop: Header=BB61_33 Depth=1
	ds_load_b32 v2, v3 offset:32824
	s_wait_dscnt 0x0
	v_add_nc_u32_e32 v10, v10, v2
	s_or_b32 exec_lo, exec_lo, s21
	s_and_saveexec_b32 s21, s8
	s_cbranch_execz .LBB61_42
.LBB61_58:                              ;   in Loop: Header=BB61_33 Depth=1
	ds_load_b32 v2, v3 offset:32832
	s_wait_dscnt 0x0
	v_add_nc_u32_e32 v10, v10, v2
	s_or_b32 exec_lo, exec_lo, s21
	s_and_saveexec_b32 s21, s9
	s_cbranch_execz .LBB61_43
.LBB61_59:                              ;   in Loop: Header=BB61_33 Depth=1
	ds_load_b32 v2, v3 offset:32840
	s_wait_dscnt 0x0
	v_add_nc_u32_e32 v10, v10, v2
	s_or_b32 exec_lo, exec_lo, s21
	s_and_saveexec_b32 s21, s10
	s_cbranch_execz .LBB61_44
.LBB61_60:                              ;   in Loop: Header=BB61_33 Depth=1
	ds_load_b32 v2, v3 offset:32848
	s_wait_dscnt 0x0
	v_add_nc_u32_e32 v10, v10, v2
	s_or_b32 exec_lo, exec_lo, s21
	s_and_saveexec_b32 s21, s11
	s_cbranch_execz .LBB61_45
.LBB61_61:                              ;   in Loop: Header=BB61_33 Depth=1
	ds_load_b32 v2, v3 offset:32856
	s_wait_dscnt 0x0
	v_add_nc_u32_e32 v10, v10, v2
	s_or_b32 exec_lo, exec_lo, s21
	s_and_saveexec_b32 s21, s12
	s_cbranch_execz .LBB61_46
.LBB61_62:                              ;   in Loop: Header=BB61_33 Depth=1
	ds_load_b32 v2, v3 offset:32864
	s_wait_dscnt 0x0
	v_add_nc_u32_e32 v10, v10, v2
	s_or_b32 exec_lo, exec_lo, s21
	s_and_saveexec_b32 s21, s13
	s_cbranch_execz .LBB61_47
.LBB61_63:                              ;   in Loop: Header=BB61_33 Depth=1
	ds_load_b32 v2, v3 offset:32872
	s_wait_dscnt 0x0
	v_add_nc_u32_e32 v10, v10, v2
	s_or_b32 exec_lo, exec_lo, s21
	s_and_saveexec_b32 s21, s14
	s_cbranch_execz .LBB61_48
.LBB61_64:                              ;   in Loop: Header=BB61_33 Depth=1
	ds_load_b32 v2, v3 offset:32880
	s_wait_dscnt 0x0
	v_add_nc_u32_e32 v10, v10, v2
	s_or_b32 exec_lo, exec_lo, s21
	s_delay_alu instid0(VALU_DEP_1)
	v_ashrrev_i32_e32 v11, 31, v10
	s_and_saveexec_b32 s21, s15
	s_cbranch_execz .LBB61_49
.LBB61_65:                              ;   in Loop: Header=BB61_33 Depth=1
	v_lshlrev_b32_e32 v2, 3, v6
	v_lshlrev_b32_e32 v5, 3, v10
	s_delay_alu instid0(VALU_DEP_2) | instskip(NEXT) | instid1(VALU_DEP_1)
	v_add_nc_u32_e32 v2, 0, v2
	v_add3_u32 v2, v2, v5, -8
	ds_store_b64 v2, v[8:9]
	s_or_b32 exec_lo, exec_lo, s21
	s_and_saveexec_b32 s15, vcc_lo
	s_cbranch_execz .LBB61_32
.LBB61_66:                              ;   in Loop: Header=BB61_33 Depth=1
	ds_store_b64 v3, v[10:11] offset:32888
	s_branch .LBB61_32
.LBB61_67:
	s_or_b32 exec_lo, exec_lo, s20
	s_wait_kmcnt 0x0
	s_lshl_b64 s[0:1], s[18:19], 3
	v_mov_b32_e32 v1, 0
	s_add_nc_u64 s[4:5], s[30:31], s[0:1]
	s_mov_b32 s6, exec_lo
	s_load_b128 s[0:3], s[4:5], 0x0
	s_wait_kmcnt 0x0
	s_sub_nc_u64 s[4:5], s[2:3], s[0:1]
	s_delay_alu instid0(SALU_CYCLE_1)
	v_cmpx_gt_i64_e64 s[4:5], v[0:1]
	s_cbranch_execz .LBB61_77
; %bb.68:
	s_sub_nc_u64 s[8:9], s[0:1], s[2:3]
	s_and_b64 s[6:7], s[4:5], 7
	v_cmp_lt_u64_e64 s10, s[8:9], -7
	s_and_b64 s[2:3], s[4:5], -8
	s_mov_b32 s27, 0
	s_cmp_lg_u64 s[6:7], 0
	s_sub_nc_u64 s[0:1], s[0:1], s[26:27]
	s_cselect_b32 s11, -1, 0
	s_mov_b32 s12, s27
	s_branch .LBB61_70
.LBB61_69:                              ;   in Loop: Header=BB61_70 Depth=1
	v_add_nc_u64_e32 v[0:1], 0x400, v[0:1]
	s_wait_dscnt 0x0
	v_add_nc_u64_e32 v[2:3], s[26:27], v[2:3]
	s_delay_alu instid0(VALU_DEP_3) | instskip(NEXT) | instid1(VALU_DEP_3)
	v_lshl_add_u64 v[4:5], v[4:5], 3, s[34:35]
	v_cmp_le_i64_e32 vcc_lo, s[4:5], v[0:1]
	global_store_b64 v[4:5], v[2:3], off
	s_or_b32 s12, vcc_lo, s12
	s_wait_xcnt 0x0
	s_and_not1_b32 exec_lo, exec_lo, s12
	s_cbranch_execz .LBB61_77
.LBB61_70:                              ; =>This Loop Header: Depth=1
                                        ;     Child Loop BB61_72 Depth 2
                                        ;     Child Loop BB61_76 Depth 2
	v_lshl_add_u32 v2, v0, 3, 0
	v_mov_b64_e32 v[4:5], s[0:1]
	s_and_not1_b32 vcc_lo, exec_lo, s10
	s_mov_b64 s[8:9], 0
	ds_load_b64 v[2:3], v2
	s_cbranch_vccnz .LBB61_74
; %bb.71:                               ;   in Loop: Header=BB61_70 Depth=1
	v_mov_b64_e32 v[4:5], s[0:1]
	s_mov_b32 s13, 0
.LBB61_72:                              ;   Parent Loop BB61_70 Depth=1
                                        ; =>  This Inner Loop Header: Depth=2
	s_delay_alu instid0(SALU_CYCLE_1)
	v_dual_mov_b32 v18, s13 :: v_dual_mov_b32 v15, s27
	v_mov_b32_e32 v17, s27
	s_add_nc_u64 s[8:9], s[8:9], 8
	s_add_co_i32 s13, s13, 64
	ds_load_2addr_b64 v[6:9], v18 offset1:1
	ds_load_2addr_b64 v[10:13], v18 offset0:2 offset1:3
	s_cmp_eq_u64 s[2:3], s[8:9]
	s_wait_dscnt 0x1
	v_cmp_gt_i64_e32 vcc_lo, v[2:3], v[6:7]
	v_cndmask_b32_e64 v14, 0, 1, vcc_lo
	v_cmp_gt_i64_e32 vcc_lo, v[2:3], v[8:9]
	s_delay_alu instid0(VALU_DEP_2) | instskip(SKIP_4) | instid1(VALU_DEP_2)
	v_add_nc_u64_e32 v[8:9], v[4:5], v[14:15]
	ds_load_2addr_b64 v[4:7], v18 offset0:4 offset1:5
	v_cndmask_b32_e64 v16, 0, 1, vcc_lo
	s_wait_dscnt 0x1
	v_cmp_gt_i64_e32 vcc_lo, v[2:3], v[10:11]
	v_add_nc_u64_e32 v[8:9], v[8:9], v[16:17]
	v_cndmask_b32_e64 v14, 0, 1, vcc_lo
	v_cmp_gt_i64_e32 vcc_lo, v[2:3], v[12:13]
	s_delay_alu instid0(VALU_DEP_2)
	v_add_nc_u64_e32 v[12:13], v[8:9], v[14:15]
	ds_load_2addr_b64 v[8:11], v18 offset0:6 offset1:7
	v_cndmask_b32_e64 v16, 0, 1, vcc_lo
	s_wait_dscnt 0x1
	v_cmp_gt_i64_e32 vcc_lo, v[2:3], v[4:5]
	v_mov_b32_e32 v5, s27
	s_delay_alu instid0(VALU_DEP_3) | instskip(SKIP_3) | instid1(VALU_DEP_3)
	v_add_nc_u64_e32 v[12:13], v[12:13], v[16:17]
	v_cndmask_b32_e64 v14, 0, 1, vcc_lo
	v_cmp_gt_i64_e32 vcc_lo, v[2:3], v[6:7]
	v_mov_b32_e32 v7, s27
	v_add_nc_u64_e32 v[12:13], v[12:13], v[14:15]
	v_cndmask_b32_e64 v4, 0, 1, vcc_lo
	s_wait_dscnt 0x0
	v_cmp_gt_i64_e32 vcc_lo, v[2:3], v[8:9]
	v_mov_b32_e32 v9, s27
	s_delay_alu instid0(VALU_DEP_3) | instskip(SKIP_2) | instid1(VALU_DEP_2)
	v_add_nc_u64_e32 v[4:5], v[12:13], v[4:5]
	v_cndmask_b32_e64 v6, 0, 1, vcc_lo
	v_cmp_gt_i64_e32 vcc_lo, v[2:3], v[10:11]
	v_add_nc_u64_e32 v[4:5], v[4:5], v[6:7]
	v_cndmask_b32_e64 v8, 0, 1, vcc_lo
	s_delay_alu instid0(VALU_DEP_1)
	v_add_nc_u64_e32 v[4:5], v[4:5], v[8:9]
	s_cbranch_scc0 .LBB61_72
; %bb.73:                               ;   in Loop: Header=BB61_70 Depth=1
	s_mov_b64 s[8:9], s[2:3]
.LBB61_74:                              ;   in Loop: Header=BB61_70 Depth=1
	s_and_not1_b32 vcc_lo, exec_lo, s11
	s_cbranch_vccnz .LBB61_69
; %bb.75:                               ;   in Loop: Header=BB61_70 Depth=1
	s_lshl_b32 s8, s8, 3
	s_delay_alu instid0(SALU_CYCLE_1)
	s_add_co_i32 s13, s8, 0
	s_mov_b64 s[8:9], s[6:7]
.LBB61_76:                              ;   Parent Loop BB61_70 Depth=1
                                        ; =>  This Inner Loop Header: Depth=2
	v_dual_mov_b32 v6, s13 :: v_dual_mov_b32 v9, s27
	s_add_nc_u64 s[8:9], s[8:9], -1
	s_add_co_i32 s13, s13, 8
	s_cmp_lg_u64 s[8:9], 0
	ds_load_b64 v[6:7], v6
	s_wait_dscnt 0x0
	v_cmp_gt_i64_e32 vcc_lo, v[2:3], v[6:7]
	v_cndmask_b32_e64 v8, 0, 1, vcc_lo
	s_delay_alu instid0(VALU_DEP_1)
	v_add_nc_u64_e32 v[4:5], v[4:5], v[8:9]
	s_cbranch_scc1 .LBB61_76
	s_branch .LBB61_69
.LBB61_77:
	s_endpgm
	.section	.rodata,"a",@progbits
	.p2align	6, 0x0
	.amdhsa_kernel _ZN9rocsparseL35csrgemm_symbolic_fill_block_per_rowILj1024ELj64ELj4096ELj137ELj64EllEEvT5_PKS1_S3_PKT4_S3_S6_S3_S6_S3_S6_PS1_21rocsparse_index_base_S8_S8_S8_bb
		.amdhsa_group_segment_fixed_size 0
		.amdhsa_private_segment_fixed_size 0
		.amdhsa_kernarg_size 108
		.amdhsa_user_sgpr_count 2
		.amdhsa_user_sgpr_dispatch_ptr 0
		.amdhsa_user_sgpr_queue_ptr 0
		.amdhsa_user_sgpr_kernarg_segment_ptr 1
		.amdhsa_user_sgpr_dispatch_id 0
		.amdhsa_user_sgpr_kernarg_preload_length 0
		.amdhsa_user_sgpr_kernarg_preload_offset 0
		.amdhsa_user_sgpr_private_segment_size 0
		.amdhsa_wavefront_size32 1
		.amdhsa_uses_dynamic_stack 0
		.amdhsa_enable_private_segment 0
		.amdhsa_system_sgpr_workgroup_id_x 1
		.amdhsa_system_sgpr_workgroup_id_y 0
		.amdhsa_system_sgpr_workgroup_id_z 0
		.amdhsa_system_sgpr_workgroup_info 0
		.amdhsa_system_vgpr_workitem_id 0
		.amdhsa_next_free_vgpr 19
		.amdhsa_next_free_sgpr 37
		.amdhsa_named_barrier_count 0
		.amdhsa_reserve_vcc 1
		.amdhsa_float_round_mode_32 0
		.amdhsa_float_round_mode_16_64 0
		.amdhsa_float_denorm_mode_32 3
		.amdhsa_float_denorm_mode_16_64 3
		.amdhsa_fp16_overflow 0
		.amdhsa_memory_ordered 1
		.amdhsa_forward_progress 1
		.amdhsa_inst_pref_size 22
		.amdhsa_round_robin_scheduling 0
		.amdhsa_exception_fp_ieee_invalid_op 0
		.amdhsa_exception_fp_denorm_src 0
		.amdhsa_exception_fp_ieee_div_zero 0
		.amdhsa_exception_fp_ieee_overflow 0
		.amdhsa_exception_fp_ieee_underflow 0
		.amdhsa_exception_fp_ieee_inexact 0
		.amdhsa_exception_int_div_zero 0
	.end_amdhsa_kernel
	.section	.text._ZN9rocsparseL35csrgemm_symbolic_fill_block_per_rowILj1024ELj64ELj4096ELj137ELj64EllEEvT5_PKS1_S3_PKT4_S3_S6_S3_S6_S3_S6_PS1_21rocsparse_index_base_S8_S8_S8_bb,"axG",@progbits,_ZN9rocsparseL35csrgemm_symbolic_fill_block_per_rowILj1024ELj64ELj4096ELj137ELj64EllEEvT5_PKS1_S3_PKT4_S3_S6_S3_S6_S3_S6_PS1_21rocsparse_index_base_S8_S8_S8_bb,comdat
.Lfunc_end61:
	.size	_ZN9rocsparseL35csrgemm_symbolic_fill_block_per_rowILj1024ELj64ELj4096ELj137ELj64EllEEvT5_PKS1_S3_PKT4_S3_S6_S3_S6_S3_S6_PS1_21rocsparse_index_base_S8_S8_S8_bb, .Lfunc_end61-_ZN9rocsparseL35csrgemm_symbolic_fill_block_per_rowILj1024ELj64ELj4096ELj137ELj64EllEEvT5_PKS1_S3_PKT4_S3_S6_S3_S6_S3_S6_PS1_21rocsparse_index_base_S8_S8_S8_bb
                                        ; -- End function
	.set _ZN9rocsparseL35csrgemm_symbolic_fill_block_per_rowILj1024ELj64ELj4096ELj137ELj64EllEEvT5_PKS1_S3_PKT4_S3_S6_S3_S6_S3_S6_PS1_21rocsparse_index_base_S8_S8_S8_bb.num_vgpr, 19
	.set _ZN9rocsparseL35csrgemm_symbolic_fill_block_per_rowILj1024ELj64ELj4096ELj137ELj64EllEEvT5_PKS1_S3_PKT4_S3_S6_S3_S6_S3_S6_PS1_21rocsparse_index_base_S8_S8_S8_bb.num_agpr, 0
	.set _ZN9rocsparseL35csrgemm_symbolic_fill_block_per_rowILj1024ELj64ELj4096ELj137ELj64EllEEvT5_PKS1_S3_PKT4_S3_S6_S3_S6_S3_S6_PS1_21rocsparse_index_base_S8_S8_S8_bb.numbered_sgpr, 37
	.set _ZN9rocsparseL35csrgemm_symbolic_fill_block_per_rowILj1024ELj64ELj4096ELj137ELj64EllEEvT5_PKS1_S3_PKT4_S3_S6_S3_S6_S3_S6_PS1_21rocsparse_index_base_S8_S8_S8_bb.num_named_barrier, 0
	.set _ZN9rocsparseL35csrgemm_symbolic_fill_block_per_rowILj1024ELj64ELj4096ELj137ELj64EllEEvT5_PKS1_S3_PKT4_S3_S6_S3_S6_S3_S6_PS1_21rocsparse_index_base_S8_S8_S8_bb.private_seg_size, 0
	.set _ZN9rocsparseL35csrgemm_symbolic_fill_block_per_rowILj1024ELj64ELj4096ELj137ELj64EllEEvT5_PKS1_S3_PKT4_S3_S6_S3_S6_S3_S6_PS1_21rocsparse_index_base_S8_S8_S8_bb.uses_vcc, 1
	.set _ZN9rocsparseL35csrgemm_symbolic_fill_block_per_rowILj1024ELj64ELj4096ELj137ELj64EllEEvT5_PKS1_S3_PKT4_S3_S6_S3_S6_S3_S6_PS1_21rocsparse_index_base_S8_S8_S8_bb.uses_flat_scratch, 0
	.set _ZN9rocsparseL35csrgemm_symbolic_fill_block_per_rowILj1024ELj64ELj4096ELj137ELj64EllEEvT5_PKS1_S3_PKT4_S3_S6_S3_S6_S3_S6_PS1_21rocsparse_index_base_S8_S8_S8_bb.has_dyn_sized_stack, 0
	.set _ZN9rocsparseL35csrgemm_symbolic_fill_block_per_rowILj1024ELj64ELj4096ELj137ELj64EllEEvT5_PKS1_S3_PKT4_S3_S6_S3_S6_S3_S6_PS1_21rocsparse_index_base_S8_S8_S8_bb.has_recursion, 0
	.set _ZN9rocsparseL35csrgemm_symbolic_fill_block_per_rowILj1024ELj64ELj4096ELj137ELj64EllEEvT5_PKS1_S3_PKT4_S3_S6_S3_S6_S3_S6_PS1_21rocsparse_index_base_S8_S8_S8_bb.has_indirect_call, 0
	.section	.AMDGPU.csdata,"",@progbits
; Kernel info:
; codeLenInByte = 2748
; TotalNumSgprs: 39
; NumVgprs: 19
; ScratchSize: 0
; MemoryBound: 0
; FloatMode: 240
; IeeeMode: 1
; LDSByteSize: 0 bytes/workgroup (compile time only)
; SGPRBlocks: 0
; VGPRBlocks: 1
; NumSGPRsForWavesPerEU: 39
; NumVGPRsForWavesPerEU: 19
; NamedBarCnt: 0
; Occupancy: 16
; WaveLimiterHint : 1
; COMPUTE_PGM_RSRC2:SCRATCH_EN: 0
; COMPUTE_PGM_RSRC2:USER_SGPR: 2
; COMPUTE_PGM_RSRC2:TRAP_HANDLER: 0
; COMPUTE_PGM_RSRC2:TGID_X_EN: 1
; COMPUTE_PGM_RSRC2:TGID_Y_EN: 0
; COMPUTE_PGM_RSRC2:TGID_Z_EN: 0
; COMPUTE_PGM_RSRC2:TIDIG_COMP_CNT: 0
	.section	.text._ZN9rocsparseL35csrgemm_symbolic_fill_block_per_rowILj1024ELj64ELj8192ELj137ELj32EllEEvT5_PKS1_S3_PKT4_S3_S6_S3_S6_S3_S6_PS1_21rocsparse_index_base_S8_S8_S8_bb,"axG",@progbits,_ZN9rocsparseL35csrgemm_symbolic_fill_block_per_rowILj1024ELj64ELj8192ELj137ELj32EllEEvT5_PKS1_S3_PKT4_S3_S6_S3_S6_S3_S6_PS1_21rocsparse_index_base_S8_S8_S8_bb,comdat
	.globl	_ZN9rocsparseL35csrgemm_symbolic_fill_block_per_rowILj1024ELj64ELj8192ELj137ELj32EllEEvT5_PKS1_S3_PKT4_S3_S6_S3_S6_S3_S6_PS1_21rocsparse_index_base_S8_S8_S8_bb ; -- Begin function _ZN9rocsparseL35csrgemm_symbolic_fill_block_per_rowILj1024ELj64ELj8192ELj137ELj32EllEEvT5_PKS1_S3_PKT4_S3_S6_S3_S6_S3_S6_PS1_21rocsparse_index_base_S8_S8_S8_bb
	.p2align	8
	.type	_ZN9rocsparseL35csrgemm_symbolic_fill_block_per_rowILj1024ELj64ELj8192ELj137ELj32EllEEvT5_PKS1_S3_PKT4_S3_S6_S3_S6_S3_S6_PS1_21rocsparse_index_base_S8_S8_S8_bb,@function
_ZN9rocsparseL35csrgemm_symbolic_fill_block_per_rowILj1024ELj64ELj8192ELj137ELj32EllEEvT5_PKS1_S3_PKT4_S3_S6_S3_S6_S3_S6_PS1_21rocsparse_index_base_S8_S8_S8_bb: ; @_ZN9rocsparseL35csrgemm_symbolic_fill_block_per_rowILj1024ELj64ELj8192ELj137ELj32EllEEvT5_PKS1_S3_PKT4_S3_S6_S3_S6_S3_S6_PS1_21rocsparse_index_base_S8_S8_S8_bb
; %bb.0:
	s_clause 0x1
	s_load_b128 s[40:43], s[0:1], 0x0
	s_load_b64 s[2:3], s[0:1], 0x10
	v_lshl_add_u32 v13, v0, 3, 0
	s_bfe_u32 s7, ttmp6, 0x4000c
	s_and_b32 s6, ttmp6, 15
	s_add_co_i32 s7, s7, 1
	s_getreg_b32 s8, hwreg(HW_REG_IB_STS2, 6, 4)
	s_mul_i32 s7, ttmp9, s7
	s_load_b32 s14, s[0:1], 0x68
	s_add_co_i32 s6, s6, s7
	s_wait_kmcnt 0x0
	v_mov_b64_e32 v[2:3], s[40:41]
	v_mov_b64_e32 v[4:5], s[40:41]
	;; [unrolled: 1-line block ×8, first 2 shown]
	ds_store_2addr_stride64_b64 v13, v[2:3], v[4:5] offset1:16
	ds_store_2addr_stride64_b64 v13, v[6:7], v[8:9] offset0:32 offset1:48
	ds_store_2addr_stride64_b64 v13, v[10:11], v[14:15] offset0:64 offset1:80
	ds_store_2addr_stride64_b64 v13, v[16:17], v[18:19] offset0:96 offset1:112
	s_wait_dscnt 0x0
	s_barrier_signal -1
	s_barrier_wait -1
	s_load_b64 s[4:5], s[42:43], 0x0
	s_wait_kmcnt 0x0
	s_lshl_b64 s[4:5], s[4:5], 3
	s_cmp_eq_u32 s8, 0
	s_add_nc_u64 s[2:3], s[2:3], s[4:5]
	s_cselect_b32 s4, ttmp9, s6
	s_load_b128 s[36:39], s[0:1], 0x58
	s_load_b64 s[34:35], s[2:3], s4 offset:0x0 scale_offset
	s_bitcmp0_b32 s14, 0
	s_wait_xcnt 0x0
	s_mov_b32 s3, 0
	s_cbranch_scc1 .LBB62_16
; %bb.1:
	s_load_b64 s[4:5], s[0:1], 0x18
	s_wait_kmcnt 0x0
	s_lshl_b64 s[6:7], s[34:35], 3
	v_dual_mov_b32 v5, 0 :: v_dual_lshrrev_b32 v4, 6, v0
	s_mov_b32 s2, s36
	s_mov_b32 s15, exec_lo
	s_delay_alu instid0(VALU_DEP_1) | instskip(SKIP_3) | instid1(VALU_DEP_1)
	v_sub_nc_u64_e64 v[2:3], v[4:5], s[2:3]
	s_add_nc_u64 s[8:9], s[4:5], s[6:7]
	s_load_b128 s[4:7], s[8:9], 0x0
	s_wait_kmcnt 0x0
	v_add_nc_u64_e32 v[2:3], s[4:5], v[2:3]
	s_sub_nc_u64 s[8:9], s[6:7], s[2:3]
	s_delay_alu instid0(VALU_DEP_1) | instid1(SALU_CYCLE_1)
	v_cmpx_gt_i64_e64 s[8:9], v[2:3]
	s_cbranch_execz .LBB62_15
; %bb.2:
	s_clause 0x1
	s_load_b128 s[4:7], s[0:1], 0x20
	s_load_b64 s[10:11], s[0:1], 0x30
	v_and_b32_e32 v4, 63, v0
	s_mov_b32 s13, 0
	s_mov_b32 s12, s37
	;; [unrolled: 1-line block ×3, first 2 shown]
	s_delay_alu instid0(VALU_DEP_1)
	v_sub_nc_u64_e64 v[4:5], v[4:5], s[12:13]
	s_branch .LBB62_4
.LBB62_3:                               ;   in Loop: Header=BB62_4 Depth=1
	s_or_b32 exec_lo, exec_lo, s17
	v_add_nc_u64_e32 v[2:3], 16, v[2:3]
	s_delay_alu instid0(VALU_DEP_1) | instskip(SKIP_1) | instid1(SALU_CYCLE_1)
	v_cmp_le_i64_e32 vcc_lo, s[8:9], v[2:3]
	s_or_b32 s16, vcc_lo, s16
	s_and_not1_b32 exec_lo, exec_lo, s16
	s_cbranch_execz .LBB62_15
.LBB62_4:                               ; =>This Loop Header: Depth=1
                                        ;     Child Loop BB62_7 Depth 2
                                        ;       Child Loop BB62_10 Depth 3
	s_wait_kmcnt 0x0
	v_lshl_add_u64 v[6:7], v[2:3], 3, s[4:5]
	s_mov_b32 s17, exec_lo
	global_load_b64 v[6:7], v[6:7], off
	s_wait_loadcnt 0x0
	v_sub_nc_u64_e64 v[6:7], v[6:7], s[2:3]
	s_delay_alu instid0(VALU_DEP_1) | instskip(SKIP_4) | instid1(VALU_DEP_1)
	v_lshl_add_u64 v[6:7], v[6:7], 3, s[6:7]
	global_load_b128 v[8:11], v[6:7], off
	s_wait_loadcnt 0x0
	v_sub_nc_u64_e64 v[6:7], v[10:11], s[12:13]
	v_add_nc_u64_e32 v[8:9], v[8:9], v[4:5]
	v_cmpx_lt_i64_e64 v[8:9], v[6:7]
	s_cbranch_execz .LBB62_3
; %bb.5:                                ;   in Loop: Header=BB62_4 Depth=1
	s_mov_b32 s18, 0
	s_branch .LBB62_7
.LBB62_6:                               ;   in Loop: Header=BB62_7 Depth=2
	s_or_b32 exec_lo, exec_lo, s19
	v_add_nc_u64_e32 v[8:9], 64, v[8:9]
	s_delay_alu instid0(VALU_DEP_1) | instskip(SKIP_1) | instid1(SALU_CYCLE_1)
	v_cmp_ge_i64_e32 vcc_lo, v[8:9], v[6:7]
	s_or_b32 s18, vcc_lo, s18
	s_and_not1_b32 exec_lo, exec_lo, s18
	s_cbranch_execz .LBB62_3
.LBB62_7:                               ;   Parent Loop BB62_4 Depth=1
                                        ; =>  This Loop Header: Depth=2
                                        ;       Child Loop BB62_10 Depth 3
	v_lshl_add_u64 v[10:11], v[8:9], 3, s[10:11]
	s_mov_b32 s19, 0
                                        ; implicit-def: $sgpr20
	global_load_b64 v[10:11], v[10:11], off
	s_wait_loadcnt 0x0
	v_sub_nc_u64_e64 v[10:11], v[10:11], s[12:13]
	s_delay_alu instid0(VALU_DEP_1) | instskip(NEXT) | instid1(VALU_DEP_1)
	v_mul_lo_u32 v1, 0x89, v10
	v_and_b32_e32 v12, 0x1fff, v1
	s_branch .LBB62_10
.LBB62_8:                               ;   in Loop: Header=BB62_10 Depth=3
	s_or_b32 exec_lo, exec_lo, s22
	s_delay_alu instid0(SALU_CYCLE_1) | instskip(SKIP_1) | instid1(SALU_CYCLE_1)
	s_and_not1_b32 s20, s20, exec_lo
	s_and_b32 s22, s23, exec_lo
	s_or_b32 s20, s20, s22
.LBB62_9:                               ;   in Loop: Header=BB62_10 Depth=3
	s_or_b32 exec_lo, exec_lo, s21
	s_xor_b32 s21, s20, -1
	s_delay_alu instid0(SALU_CYCLE_1) | instskip(NEXT) | instid1(SALU_CYCLE_1)
	s_and_b32 s21, exec_lo, s21
	s_or_b32 s19, s21, s19
	s_delay_alu instid0(SALU_CYCLE_1)
	s_and_not1_b32 exec_lo, exec_lo, s19
	s_cbranch_execz .LBB62_6
.LBB62_10:                              ;   Parent Loop BB62_4 Depth=1
                                        ;     Parent Loop BB62_7 Depth=2
                                        ; =>    This Inner Loop Header: Depth=3
	s_delay_alu instid0(VALU_DEP_1)
	v_lshl_add_u32 v1, v12, 3, 0
	s_and_not1_b32 s20, s20, exec_lo
	s_mov_b32 s21, exec_lo
	ds_load_b64 v[14:15], v1
	s_wait_dscnt 0x0
	v_cmpx_ne_u64_e64 v[14:15], v[10:11]
	s_cbranch_execz .LBB62_9
; %bb.11:                               ;   in Loop: Header=BB62_10 Depth=3
	s_mov_b32 s22, exec_lo
	v_cmpx_ne_u64_e64 s[40:41], v[14:15]
	s_xor_b32 s22, exec_lo, s22
; %bb.12:                               ;   in Loop: Header=BB62_10 Depth=3
	v_add_nc_u32_e32 v1, 1, v12
	s_delay_alu instid0(VALU_DEP_1)
	v_and_b32_e32 v12, 0x1fff, v1
                                        ; implicit-def: $vgpr1
; %bb.13:                               ;   in Loop: Header=BB62_10 Depth=3
	s_or_saveexec_b32 s22, s22
	s_mov_b32 s23, -1
	s_xor_b32 exec_lo, exec_lo, s22
	s_cbranch_execz .LBB62_8
; %bb.14:                               ;   in Loop: Header=BB62_10 Depth=3
	v_mov_b64_e32 v[14:15], s[40:41]
	ds_cmpstore_rtn_b64 v[14:15], v1, v[10:11], v[14:15]
	s_wait_dscnt 0x0
	v_cmp_ne_u64_e32 vcc_lo, s[40:41], v[14:15]
	s_or_not1_b32 s23, vcc_lo, exec_lo
	s_branch .LBB62_8
.LBB62_15:
	s_or_b32 exec_lo, exec_lo, s15
.LBB62_16:
	s_bfe_u32 s2, s14, 0x10008
	s_delay_alu instid0(SALU_CYCLE_1)
	s_cmp_eq_u32 s2, 0
	s_cbranch_scc1 .LBB62_29
; %bb.17:
	s_load_b64 s[2:3], s[0:1], 0x38
	s_wait_kmcnt 0x0
	s_lshl_b64 s[4:5], s[34:35], 3
	v_mov_b32_e32 v1, 0
	s_mov_b32 s8, exec_lo
	s_add_nc_u64 s[2:3], s[2:3], s[4:5]
	s_load_b128 s[4:7], s[2:3], 0x0
	s_wait_xcnt 0x0
	s_mov_b32 s3, 0
	s_mov_b32 s2, s39
	s_delay_alu instid0(SALU_CYCLE_1) | instskip(SKIP_1) | instid1(VALU_DEP_1)
	v_sub_nc_u64_e64 v[2:3], v[0:1], s[2:3]
	s_wait_kmcnt 0x0
	v_add_nc_u64_e32 v[2:3], s[4:5], v[2:3]
	s_sub_nc_u64 s[4:5], s[6:7], s[2:3]
	s_delay_alu instid0(VALU_DEP_1) | instid1(SALU_CYCLE_1)
	v_cmpx_gt_i64_e64 s[4:5], v[2:3]
	s_cbranch_execz .LBB62_28
; %bb.18:
	s_load_b64 s[6:7], s[0:1], 0x40
	s_mov_b32 s9, s3
	s_branch .LBB62_20
.LBB62_19:                              ;   in Loop: Header=BB62_20 Depth=1
	s_or_b32 exec_lo, exec_lo, s10
	v_add_nc_u64_e32 v[2:3], 0x400, v[2:3]
	s_delay_alu instid0(VALU_DEP_1) | instskip(SKIP_1) | instid1(SALU_CYCLE_1)
	v_cmp_le_i64_e32 vcc_lo, s[4:5], v[2:3]
	s_or_b32 s9, vcc_lo, s9
	s_and_not1_b32 exec_lo, exec_lo, s9
	s_cbranch_execz .LBB62_28
.LBB62_20:                              ; =>This Loop Header: Depth=1
                                        ;     Child Loop BB62_23 Depth 2
	s_wait_kmcnt 0x0
	v_lshl_add_u64 v[4:5], v[2:3], 3, s[6:7]
	s_mov_b32 s10, 0
                                        ; implicit-def: $sgpr11
	global_load_b64 v[4:5], v[4:5], off
	s_wait_loadcnt 0x0
	v_sub_nc_u64_e64 v[4:5], v[4:5], s[2:3]
	s_delay_alu instid0(VALU_DEP_1) | instskip(NEXT) | instid1(VALU_DEP_1)
	v_mul_lo_u32 v1, 0x89, v4
	v_and_b32_e32 v6, 0x1fff, v1
	s_branch .LBB62_23
.LBB62_21:                              ;   in Loop: Header=BB62_23 Depth=2
	s_or_b32 exec_lo, exec_lo, s13
	s_delay_alu instid0(SALU_CYCLE_1) | instskip(SKIP_1) | instid1(SALU_CYCLE_1)
	s_and_not1_b32 s11, s11, exec_lo
	s_and_b32 s13, s14, exec_lo
	s_or_b32 s11, s11, s13
.LBB62_22:                              ;   in Loop: Header=BB62_23 Depth=2
	s_or_b32 exec_lo, exec_lo, s12
	s_xor_b32 s12, s11, -1
	s_delay_alu instid0(SALU_CYCLE_1) | instskip(NEXT) | instid1(SALU_CYCLE_1)
	s_and_b32 s12, exec_lo, s12
	s_or_b32 s10, s12, s10
	s_delay_alu instid0(SALU_CYCLE_1)
	s_and_not1_b32 exec_lo, exec_lo, s10
	s_cbranch_execz .LBB62_19
.LBB62_23:                              ;   Parent Loop BB62_20 Depth=1
                                        ; =>  This Inner Loop Header: Depth=2
	s_delay_alu instid0(VALU_DEP_1)
	v_lshl_add_u32 v1, v6, 3, 0
	s_and_not1_b32 s11, s11, exec_lo
	s_mov_b32 s12, exec_lo
	ds_load_b64 v[8:9], v1
	s_wait_dscnt 0x0
	v_cmpx_ne_u64_e64 v[8:9], v[4:5]
	s_cbranch_execz .LBB62_22
; %bb.24:                               ;   in Loop: Header=BB62_23 Depth=2
	s_mov_b32 s13, exec_lo
	v_cmpx_ne_u64_e64 s[40:41], v[8:9]
	s_xor_b32 s13, exec_lo, s13
; %bb.25:                               ;   in Loop: Header=BB62_23 Depth=2
	v_add_nc_u32_e32 v1, 1, v6
	s_delay_alu instid0(VALU_DEP_1)
	v_and_b32_e32 v6, 0x1fff, v1
                                        ; implicit-def: $vgpr1
; %bb.26:                               ;   in Loop: Header=BB62_23 Depth=2
	s_or_saveexec_b32 s13, s13
	s_mov_b32 s14, -1
	s_xor_b32 exec_lo, exec_lo, s13
	s_cbranch_execz .LBB62_21
; %bb.27:                               ;   in Loop: Header=BB62_23 Depth=2
	v_mov_b64_e32 v[8:9], s[40:41]
	ds_cmpstore_rtn_b64 v[8:9], v1, v[4:5], v[8:9]
	s_wait_dscnt 0x0
	v_cmp_ne_u64_e32 vcc_lo, s[40:41], v[8:9]
	s_or_not1_b32 s14, vcc_lo, exec_lo
	s_branch .LBB62_21
.LBB62_28:
	s_or_b32 exec_lo, exec_lo, s8
.LBB62_29:
	s_load_b128 s[44:47], s[0:1], 0x48
	v_mbcnt_lo_u32_b32 v1, -1, 0
	v_lshrrev_b32_e32 v2, 2, v0
	v_mov_b64_e32 v[6:7], 0
	v_mov_b32_e32 v3, 0
	s_wait_xcnt 0x0
	v_cmp_lt_u32_e64 s0, 31, v0
	v_xor_b32_e32 v1, 31, v1
	v_and_b32_e32 v2, 0xf8, v2
	v_cmp_lt_u32_e64 s1, 63, v0
	v_cmp_lt_u32_e64 s2, 0x5f, v0
	;; [unrolled: 1-line block ×3, first 2 shown]
	v_lshrrev_b32_e64 v4, v1, -1
	v_add3_u32 v1, 0x10000, 0, v2
	v_cmp_lt_u32_e64 s4, 0x9f, v0
	v_cmp_lt_u32_e64 s5, 0xbf, v0
	;; [unrolled: 1-line block ×27, first 2 shown]
	v_or_b32_e32 v5, 0xfffffc00, v0
	s_mov_b32 s33, 0
	s_wait_kmcnt 0x0
	s_add_co_i32 s36, 0, 0x10000
	s_add_co_i32 s37, 0, 0x10008
	;; [unrolled: 1-line block ×32, first 2 shown]
	s_barrier_signal -1
	s_barrier_wait -1
	v_cmp_eq_u32_e32 vcc_lo, 0x3ff, v0
	s_branch .LBB62_31
.LBB62_30:                              ;   in Loop: Header=BB62_31 Depth=1
	s_or_b32 exec_lo, exec_lo, s31
	v_dual_mov_b32 v2, s74 :: v_dual_add_nc_u32 v5, 0x400, v5
	s_wait_dscnt 0x0
	s_barrier_signal -1
	s_barrier_wait -1
	ds_load_b64 v[8:9], v2
	v_cmp_lt_u32_e64 s31, 0x1bff, v5
	v_add_nc_u32_e32 v13, 0x2000, v13
	s_or_b32 s33, s31, s33
	s_wait_dscnt 0x0
	v_add_nc_u64_e32 v[6:7], v[8:9], v[6:7]
	s_and_not1_b32 exec_lo, exec_lo, s33
	s_cbranch_execz .LBB62_97
.LBB62_31:                              ; =>This Inner Loop Header: Depth=1
	ds_load_b64 v[8:9], v13
	s_wait_dscnt 0x0
	s_barrier_signal -1
	s_barrier_wait -1
	v_cmp_gt_i64_e64 s31, s[40:41], v[8:9]
	s_bcnt1_i32_b32 s75, s31
	s_delay_alu instid0(SALU_CYCLE_1) | instskip(NEXT) | instid1(VALU_DEP_1)
	v_dual_mov_b32 v2, s75 :: v_dual_bitop2_b32 v10, s31, v4 bitop3:0x40
	v_bcnt_u32_b32 v10, v10, 0
	ds_store_b64 v1, v[2:3]
	s_wait_dscnt 0x0
	s_barrier_signal -1
	s_barrier_wait -1
	s_and_saveexec_b32 s75, s0
	s_cbranch_execnz .LBB62_64
; %bb.32:                               ;   in Loop: Header=BB62_31 Depth=1
	s_or_b32 exec_lo, exec_lo, s75
	s_and_saveexec_b32 s75, s1
	s_cbranch_execnz .LBB62_65
.LBB62_33:                              ;   in Loop: Header=BB62_31 Depth=1
	s_or_b32 exec_lo, exec_lo, s75
	s_and_saveexec_b32 s75, s2
	s_cbranch_execnz .LBB62_66
.LBB62_34:                              ;   in Loop: Header=BB62_31 Depth=1
	s_or_b32 exec_lo, exec_lo, s75
	s_and_saveexec_b32 s75, s3
	s_cbranch_execnz .LBB62_67
.LBB62_35:                              ;   in Loop: Header=BB62_31 Depth=1
	s_or_b32 exec_lo, exec_lo, s75
	s_and_saveexec_b32 s75, s4
	s_cbranch_execnz .LBB62_68
.LBB62_36:                              ;   in Loop: Header=BB62_31 Depth=1
	s_or_b32 exec_lo, exec_lo, s75
	s_and_saveexec_b32 s75, s5
	s_cbranch_execnz .LBB62_69
.LBB62_37:                              ;   in Loop: Header=BB62_31 Depth=1
	s_or_b32 exec_lo, exec_lo, s75
	s_and_saveexec_b32 s75, s6
	s_cbranch_execnz .LBB62_70
.LBB62_38:                              ;   in Loop: Header=BB62_31 Depth=1
	s_or_b32 exec_lo, exec_lo, s75
	s_and_saveexec_b32 s75, s7
	s_cbranch_execnz .LBB62_71
.LBB62_39:                              ;   in Loop: Header=BB62_31 Depth=1
	s_or_b32 exec_lo, exec_lo, s75
	s_and_saveexec_b32 s75, s8
	s_cbranch_execnz .LBB62_72
.LBB62_40:                              ;   in Loop: Header=BB62_31 Depth=1
	s_or_b32 exec_lo, exec_lo, s75
	s_and_saveexec_b32 s75, s9
	s_cbranch_execnz .LBB62_73
.LBB62_41:                              ;   in Loop: Header=BB62_31 Depth=1
	s_or_b32 exec_lo, exec_lo, s75
	s_and_saveexec_b32 s75, s10
	s_cbranch_execnz .LBB62_74
.LBB62_42:                              ;   in Loop: Header=BB62_31 Depth=1
	s_or_b32 exec_lo, exec_lo, s75
	s_and_saveexec_b32 s75, s11
	s_cbranch_execnz .LBB62_75
.LBB62_43:                              ;   in Loop: Header=BB62_31 Depth=1
	s_or_b32 exec_lo, exec_lo, s75
	s_and_saveexec_b32 s75, s12
	s_cbranch_execnz .LBB62_76
.LBB62_44:                              ;   in Loop: Header=BB62_31 Depth=1
	s_or_b32 exec_lo, exec_lo, s75
	s_and_saveexec_b32 s75, s13
	s_cbranch_execnz .LBB62_77
.LBB62_45:                              ;   in Loop: Header=BB62_31 Depth=1
	s_or_b32 exec_lo, exec_lo, s75
	s_and_saveexec_b32 s75, s14
	s_cbranch_execnz .LBB62_78
.LBB62_46:                              ;   in Loop: Header=BB62_31 Depth=1
	s_or_b32 exec_lo, exec_lo, s75
	s_and_saveexec_b32 s75, s15
	s_cbranch_execnz .LBB62_79
.LBB62_47:                              ;   in Loop: Header=BB62_31 Depth=1
	s_or_b32 exec_lo, exec_lo, s75
	s_and_saveexec_b32 s75, s16
	s_cbranch_execnz .LBB62_80
.LBB62_48:                              ;   in Loop: Header=BB62_31 Depth=1
	s_or_b32 exec_lo, exec_lo, s75
	s_and_saveexec_b32 s75, s17
	s_cbranch_execnz .LBB62_81
.LBB62_49:                              ;   in Loop: Header=BB62_31 Depth=1
	s_or_b32 exec_lo, exec_lo, s75
	s_and_saveexec_b32 s75, s18
	s_cbranch_execnz .LBB62_82
.LBB62_50:                              ;   in Loop: Header=BB62_31 Depth=1
	s_or_b32 exec_lo, exec_lo, s75
	s_and_saveexec_b32 s75, s19
	s_cbranch_execnz .LBB62_83
.LBB62_51:                              ;   in Loop: Header=BB62_31 Depth=1
	s_or_b32 exec_lo, exec_lo, s75
	s_and_saveexec_b32 s75, s20
	s_cbranch_execnz .LBB62_84
.LBB62_52:                              ;   in Loop: Header=BB62_31 Depth=1
	s_or_b32 exec_lo, exec_lo, s75
	s_and_saveexec_b32 s75, s21
	s_cbranch_execnz .LBB62_85
.LBB62_53:                              ;   in Loop: Header=BB62_31 Depth=1
	s_or_b32 exec_lo, exec_lo, s75
	s_and_saveexec_b32 s75, s22
	s_cbranch_execnz .LBB62_86
.LBB62_54:                              ;   in Loop: Header=BB62_31 Depth=1
	s_or_b32 exec_lo, exec_lo, s75
	s_and_saveexec_b32 s75, s23
	s_cbranch_execnz .LBB62_87
.LBB62_55:                              ;   in Loop: Header=BB62_31 Depth=1
	s_or_b32 exec_lo, exec_lo, s75
	s_and_saveexec_b32 s75, s24
	s_cbranch_execnz .LBB62_88
.LBB62_56:                              ;   in Loop: Header=BB62_31 Depth=1
	s_or_b32 exec_lo, exec_lo, s75
	s_and_saveexec_b32 s75, s25
	s_cbranch_execnz .LBB62_89
.LBB62_57:                              ;   in Loop: Header=BB62_31 Depth=1
	s_or_b32 exec_lo, exec_lo, s75
	s_and_saveexec_b32 s75, s26
	s_cbranch_execnz .LBB62_90
.LBB62_58:                              ;   in Loop: Header=BB62_31 Depth=1
	s_or_b32 exec_lo, exec_lo, s75
	s_and_saveexec_b32 s75, s27
	s_cbranch_execnz .LBB62_91
.LBB62_59:                              ;   in Loop: Header=BB62_31 Depth=1
	s_or_b32 exec_lo, exec_lo, s75
	s_and_saveexec_b32 s75, s28
	s_cbranch_execnz .LBB62_92
.LBB62_60:                              ;   in Loop: Header=BB62_31 Depth=1
	s_or_b32 exec_lo, exec_lo, s75
	s_and_saveexec_b32 s75, s29
	s_cbranch_execnz .LBB62_93
.LBB62_61:                              ;   in Loop: Header=BB62_31 Depth=1
	s_or_b32 exec_lo, exec_lo, s75
	s_and_saveexec_b32 s75, s30
	s_cbranch_execnz .LBB62_94
.LBB62_62:                              ;   in Loop: Header=BB62_31 Depth=1
	s_or_b32 exec_lo, exec_lo, s75
	v_ashrrev_i32_e32 v11, 31, v10
	s_and_saveexec_b32 s75, s31
	s_cbranch_execnz .LBB62_95
.LBB62_63:                              ;   in Loop: Header=BB62_31 Depth=1
	s_or_b32 exec_lo, exec_lo, s75
	s_and_saveexec_b32 s31, vcc_lo
	s_cbranch_execz .LBB62_30
	s_branch .LBB62_96
.LBB62_64:                              ;   in Loop: Header=BB62_31 Depth=1
	v_mov_b32_e32 v2, s36
	ds_load_b32 v2, v2
	s_wait_dscnt 0x0
	v_add_nc_u32_e32 v10, v2, v10
	s_or_b32 exec_lo, exec_lo, s75
	s_and_saveexec_b32 s75, s1
	s_cbranch_execz .LBB62_33
.LBB62_65:                              ;   in Loop: Header=BB62_31 Depth=1
	v_mov_b32_e32 v2, s37
	ds_load_b32 v2, v2
	s_wait_dscnt 0x0
	v_add_nc_u32_e32 v10, v10, v2
	s_or_b32 exec_lo, exec_lo, s75
	s_and_saveexec_b32 s75, s2
	s_cbranch_execz .LBB62_34
.LBB62_66:                              ;   in Loop: Header=BB62_31 Depth=1
	v_mov_b32_e32 v2, s39
	ds_load_b32 v2, v2
	s_wait_dscnt 0x0
	v_add_nc_u32_e32 v10, v10, v2
	s_or_b32 exec_lo, exec_lo, s75
	s_and_saveexec_b32 s75, s3
	s_cbranch_execz .LBB62_35
.LBB62_67:                              ;   in Loop: Header=BB62_31 Depth=1
	v_mov_b32_e32 v2, s42
	ds_load_b32 v2, v2
	s_wait_dscnt 0x0
	v_add_nc_u32_e32 v10, v10, v2
	s_or_b32 exec_lo, exec_lo, s75
	s_and_saveexec_b32 s75, s4
	s_cbranch_execz .LBB62_36
.LBB62_68:                              ;   in Loop: Header=BB62_31 Depth=1
	v_mov_b32_e32 v2, s43
	ds_load_b32 v2, v2
	s_wait_dscnt 0x0
	v_add_nc_u32_e32 v10, v10, v2
	s_or_b32 exec_lo, exec_lo, s75
	s_and_saveexec_b32 s75, s5
	s_cbranch_execz .LBB62_37
.LBB62_69:                              ;   in Loop: Header=BB62_31 Depth=1
	v_mov_b32_e32 v2, s48
	ds_load_b32 v2, v2
	s_wait_dscnt 0x0
	v_add_nc_u32_e32 v10, v10, v2
	s_or_b32 exec_lo, exec_lo, s75
	s_and_saveexec_b32 s75, s6
	s_cbranch_execz .LBB62_38
.LBB62_70:                              ;   in Loop: Header=BB62_31 Depth=1
	v_mov_b32_e32 v2, s49
	ds_load_b32 v2, v2
	s_wait_dscnt 0x0
	v_add_nc_u32_e32 v10, v10, v2
	s_or_b32 exec_lo, exec_lo, s75
	s_and_saveexec_b32 s75, s7
	s_cbranch_execz .LBB62_39
.LBB62_71:                              ;   in Loop: Header=BB62_31 Depth=1
	v_mov_b32_e32 v2, s50
	ds_load_b32 v2, v2
	s_wait_dscnt 0x0
	v_add_nc_u32_e32 v10, v10, v2
	s_or_b32 exec_lo, exec_lo, s75
	s_and_saveexec_b32 s75, s8
	s_cbranch_execz .LBB62_40
.LBB62_72:                              ;   in Loop: Header=BB62_31 Depth=1
	v_mov_b32_e32 v2, s51
	ds_load_b32 v2, v2
	s_wait_dscnt 0x0
	v_add_nc_u32_e32 v10, v10, v2
	s_or_b32 exec_lo, exec_lo, s75
	s_and_saveexec_b32 s75, s9
	s_cbranch_execz .LBB62_41
.LBB62_73:                              ;   in Loop: Header=BB62_31 Depth=1
	v_mov_b32_e32 v2, s52
	ds_load_b32 v2, v2
	s_wait_dscnt 0x0
	v_add_nc_u32_e32 v10, v10, v2
	s_or_b32 exec_lo, exec_lo, s75
	s_and_saveexec_b32 s75, s10
	s_cbranch_execz .LBB62_42
.LBB62_74:                              ;   in Loop: Header=BB62_31 Depth=1
	v_mov_b32_e32 v2, s53
	ds_load_b32 v2, v2
	s_wait_dscnt 0x0
	v_add_nc_u32_e32 v10, v10, v2
	s_or_b32 exec_lo, exec_lo, s75
	s_and_saveexec_b32 s75, s11
	s_cbranch_execz .LBB62_43
.LBB62_75:                              ;   in Loop: Header=BB62_31 Depth=1
	v_mov_b32_e32 v2, s54
	ds_load_b32 v2, v2
	s_wait_dscnt 0x0
	v_add_nc_u32_e32 v10, v10, v2
	s_or_b32 exec_lo, exec_lo, s75
	s_and_saveexec_b32 s75, s12
	s_cbranch_execz .LBB62_44
.LBB62_76:                              ;   in Loop: Header=BB62_31 Depth=1
	v_mov_b32_e32 v2, s55
	ds_load_b32 v2, v2
	s_wait_dscnt 0x0
	v_add_nc_u32_e32 v10, v10, v2
	s_or_b32 exec_lo, exec_lo, s75
	s_and_saveexec_b32 s75, s13
	s_cbranch_execz .LBB62_45
.LBB62_77:                              ;   in Loop: Header=BB62_31 Depth=1
	v_mov_b32_e32 v2, s56
	ds_load_b32 v2, v2
	s_wait_dscnt 0x0
	v_add_nc_u32_e32 v10, v10, v2
	s_or_b32 exec_lo, exec_lo, s75
	s_and_saveexec_b32 s75, s14
	s_cbranch_execz .LBB62_46
.LBB62_78:                              ;   in Loop: Header=BB62_31 Depth=1
	v_mov_b32_e32 v2, s57
	ds_load_b32 v2, v2
	s_wait_dscnt 0x0
	v_add_nc_u32_e32 v10, v10, v2
	s_or_b32 exec_lo, exec_lo, s75
	s_and_saveexec_b32 s75, s15
	s_cbranch_execz .LBB62_47
.LBB62_79:                              ;   in Loop: Header=BB62_31 Depth=1
	v_mov_b32_e32 v2, s58
	ds_load_b32 v2, v2
	s_wait_dscnt 0x0
	v_add_nc_u32_e32 v10, v10, v2
	s_or_b32 exec_lo, exec_lo, s75
	s_and_saveexec_b32 s75, s16
	s_cbranch_execz .LBB62_48
.LBB62_80:                              ;   in Loop: Header=BB62_31 Depth=1
	v_mov_b32_e32 v2, s59
	ds_load_b32 v2, v2
	s_wait_dscnt 0x0
	v_add_nc_u32_e32 v10, v10, v2
	s_or_b32 exec_lo, exec_lo, s75
	s_and_saveexec_b32 s75, s17
	s_cbranch_execz .LBB62_49
.LBB62_81:                              ;   in Loop: Header=BB62_31 Depth=1
	v_mov_b32_e32 v2, s60
	ds_load_b32 v2, v2
	s_wait_dscnt 0x0
	v_add_nc_u32_e32 v10, v10, v2
	s_or_b32 exec_lo, exec_lo, s75
	s_and_saveexec_b32 s75, s18
	s_cbranch_execz .LBB62_50
.LBB62_82:                              ;   in Loop: Header=BB62_31 Depth=1
	v_mov_b32_e32 v2, s61
	ds_load_b32 v2, v2
	s_wait_dscnt 0x0
	v_add_nc_u32_e32 v10, v10, v2
	s_or_b32 exec_lo, exec_lo, s75
	s_and_saveexec_b32 s75, s19
	s_cbranch_execz .LBB62_51
.LBB62_83:                              ;   in Loop: Header=BB62_31 Depth=1
	v_mov_b32_e32 v2, s62
	ds_load_b32 v2, v2
	s_wait_dscnt 0x0
	v_add_nc_u32_e32 v10, v10, v2
	s_or_b32 exec_lo, exec_lo, s75
	s_and_saveexec_b32 s75, s20
	s_cbranch_execz .LBB62_52
.LBB62_84:                              ;   in Loop: Header=BB62_31 Depth=1
	v_mov_b32_e32 v2, s63
	ds_load_b32 v2, v2
	s_wait_dscnt 0x0
	v_add_nc_u32_e32 v10, v10, v2
	s_or_b32 exec_lo, exec_lo, s75
	s_and_saveexec_b32 s75, s21
	s_cbranch_execz .LBB62_53
.LBB62_85:                              ;   in Loop: Header=BB62_31 Depth=1
	v_mov_b32_e32 v2, s64
	ds_load_b32 v2, v2
	s_wait_dscnt 0x0
	v_add_nc_u32_e32 v10, v10, v2
	s_or_b32 exec_lo, exec_lo, s75
	s_and_saveexec_b32 s75, s22
	s_cbranch_execz .LBB62_54
.LBB62_86:                              ;   in Loop: Header=BB62_31 Depth=1
	v_mov_b32_e32 v2, s65
	ds_load_b32 v2, v2
	s_wait_dscnt 0x0
	v_add_nc_u32_e32 v10, v10, v2
	s_or_b32 exec_lo, exec_lo, s75
	s_and_saveexec_b32 s75, s23
	s_cbranch_execz .LBB62_55
.LBB62_87:                              ;   in Loop: Header=BB62_31 Depth=1
	v_mov_b32_e32 v2, s66
	ds_load_b32 v2, v2
	s_wait_dscnt 0x0
	v_add_nc_u32_e32 v10, v10, v2
	s_or_b32 exec_lo, exec_lo, s75
	s_and_saveexec_b32 s75, s24
	s_cbranch_execz .LBB62_56
.LBB62_88:                              ;   in Loop: Header=BB62_31 Depth=1
	v_mov_b32_e32 v2, s67
	ds_load_b32 v2, v2
	s_wait_dscnt 0x0
	v_add_nc_u32_e32 v10, v10, v2
	s_or_b32 exec_lo, exec_lo, s75
	s_and_saveexec_b32 s75, s25
	s_cbranch_execz .LBB62_57
.LBB62_89:                              ;   in Loop: Header=BB62_31 Depth=1
	v_mov_b32_e32 v2, s68
	ds_load_b32 v2, v2
	s_wait_dscnt 0x0
	v_add_nc_u32_e32 v10, v10, v2
	s_or_b32 exec_lo, exec_lo, s75
	s_and_saveexec_b32 s75, s26
	s_cbranch_execz .LBB62_58
.LBB62_90:                              ;   in Loop: Header=BB62_31 Depth=1
	v_mov_b32_e32 v2, s69
	ds_load_b32 v2, v2
	s_wait_dscnt 0x0
	v_add_nc_u32_e32 v10, v10, v2
	s_or_b32 exec_lo, exec_lo, s75
	s_and_saveexec_b32 s75, s27
	s_cbranch_execz .LBB62_59
.LBB62_91:                              ;   in Loop: Header=BB62_31 Depth=1
	v_mov_b32_e32 v2, s70
	ds_load_b32 v2, v2
	s_wait_dscnt 0x0
	v_add_nc_u32_e32 v10, v10, v2
	s_or_b32 exec_lo, exec_lo, s75
	s_and_saveexec_b32 s75, s28
	s_cbranch_execz .LBB62_60
.LBB62_92:                              ;   in Loop: Header=BB62_31 Depth=1
	v_mov_b32_e32 v2, s71
	ds_load_b32 v2, v2
	s_wait_dscnt 0x0
	v_add_nc_u32_e32 v10, v10, v2
	s_or_b32 exec_lo, exec_lo, s75
	s_and_saveexec_b32 s75, s29
	s_cbranch_execz .LBB62_61
.LBB62_93:                              ;   in Loop: Header=BB62_31 Depth=1
	v_mov_b32_e32 v2, s72
	ds_load_b32 v2, v2
	s_wait_dscnt 0x0
	v_add_nc_u32_e32 v10, v10, v2
	s_or_b32 exec_lo, exec_lo, s75
	s_and_saveexec_b32 s75, s30
	s_cbranch_execz .LBB62_62
.LBB62_94:                              ;   in Loop: Header=BB62_31 Depth=1
	v_mov_b32_e32 v2, s73
	ds_load_b32 v2, v2
	s_wait_dscnt 0x0
	v_add_nc_u32_e32 v10, v10, v2
	s_or_b32 exec_lo, exec_lo, s75
	s_delay_alu instid0(VALU_DEP_1)
	v_ashrrev_i32_e32 v11, 31, v10
	s_and_saveexec_b32 s75, s31
	s_cbranch_execz .LBB62_63
.LBB62_95:                              ;   in Loop: Header=BB62_31 Depth=1
	v_lshlrev_b32_e32 v2, 3, v6
	v_lshlrev_b32_e32 v12, 3, v10
	s_delay_alu instid0(VALU_DEP_2) | instskip(NEXT) | instid1(VALU_DEP_1)
	v_add_nc_u32_e32 v2, 0, v2
	v_add3_u32 v2, v2, v12, -8
	ds_store_b64 v2, v[8:9]
	s_or_b32 exec_lo, exec_lo, s75
	s_and_saveexec_b32 s31, vcc_lo
	s_cbranch_execz .LBB62_30
.LBB62_96:                              ;   in Loop: Header=BB62_31 Depth=1
	v_mov_b32_e32 v2, s74
	ds_store_b64 v2, v[10:11]
	s_branch .LBB62_30
.LBB62_97:
	s_or_b32 exec_lo, exec_lo, s33
	s_lshl_b64 s[0:1], s[34:35], 3
	v_mov_b32_e32 v1, 0
	s_add_nc_u64 s[4:5], s[44:45], s[0:1]
	s_mov_b32 s6, exec_lo
	s_load_b128 s[0:3], s[4:5], 0x0
	s_wait_kmcnt 0x0
	s_sub_nc_u64 s[4:5], s[2:3], s[0:1]
	s_delay_alu instid0(SALU_CYCLE_1)
	v_cmpx_gt_i64_e64 s[4:5], v[0:1]
	s_cbranch_execz .LBB62_107
; %bb.98:
	s_sub_nc_u64 s[8:9], s[0:1], s[2:3]
	s_and_b64 s[6:7], s[4:5], 7
	v_cmp_lt_u64_e64 s10, s[8:9], -7
	s_and_b64 s[2:3], s[4:5], -8
	s_mov_b32 s39, 0
	s_cmp_lg_u64 s[6:7], 0
	s_sub_nc_u64 s[0:1], s[0:1], s[38:39]
	s_cselect_b32 s11, -1, 0
	s_mov_b32 s12, s39
	s_branch .LBB62_100
.LBB62_99:                              ;   in Loop: Header=BB62_100 Depth=1
	v_add_nc_u64_e32 v[0:1], 0x400, v[0:1]
	s_wait_dscnt 0x0
	v_add_nc_u64_e32 v[2:3], s[38:39], v[2:3]
	s_delay_alu instid0(VALU_DEP_3) | instskip(NEXT) | instid1(VALU_DEP_3)
	v_lshl_add_u64 v[4:5], v[4:5], 3, s[46:47]
	v_cmp_le_i64_e32 vcc_lo, s[4:5], v[0:1]
	global_store_b64 v[4:5], v[2:3], off
	s_or_b32 s12, vcc_lo, s12
	s_wait_xcnt 0x0
	s_and_not1_b32 exec_lo, exec_lo, s12
	s_cbranch_execz .LBB62_107
.LBB62_100:                             ; =>This Loop Header: Depth=1
                                        ;     Child Loop BB62_102 Depth 2
                                        ;     Child Loop BB62_106 Depth 2
	v_lshl_add_u32 v2, v0, 3, 0
	v_mov_b64_e32 v[4:5], s[0:1]
	s_and_not1_b32 vcc_lo, exec_lo, s10
	s_mov_b64 s[8:9], 0
	ds_load_b64 v[2:3], v2
	s_cbranch_vccnz .LBB62_104
; %bb.101:                              ;   in Loop: Header=BB62_100 Depth=1
	v_mov_b64_e32 v[4:5], s[0:1]
	s_mov_b32 s13, 0
.LBB62_102:                             ;   Parent Loop BB62_100 Depth=1
                                        ; =>  This Inner Loop Header: Depth=2
	s_delay_alu instid0(SALU_CYCLE_1)
	v_dual_mov_b32 v18, s13 :: v_dual_mov_b32 v15, s39
	v_mov_b32_e32 v17, s39
	s_add_nc_u64 s[8:9], s[8:9], 8
	s_add_co_i32 s13, s13, 64
	ds_load_2addr_b64 v[6:9], v18 offset1:1
	ds_load_2addr_b64 v[10:13], v18 offset0:2 offset1:3
	s_cmp_eq_u64 s[2:3], s[8:9]
	s_wait_dscnt 0x1
	v_cmp_gt_i64_e32 vcc_lo, v[2:3], v[6:7]
	v_cndmask_b32_e64 v14, 0, 1, vcc_lo
	v_cmp_gt_i64_e32 vcc_lo, v[2:3], v[8:9]
	s_delay_alu instid0(VALU_DEP_2) | instskip(SKIP_4) | instid1(VALU_DEP_2)
	v_add_nc_u64_e32 v[8:9], v[4:5], v[14:15]
	ds_load_2addr_b64 v[4:7], v18 offset0:4 offset1:5
	v_cndmask_b32_e64 v16, 0, 1, vcc_lo
	s_wait_dscnt 0x1
	v_cmp_gt_i64_e32 vcc_lo, v[2:3], v[10:11]
	v_add_nc_u64_e32 v[8:9], v[8:9], v[16:17]
	v_cndmask_b32_e64 v14, 0, 1, vcc_lo
	v_cmp_gt_i64_e32 vcc_lo, v[2:3], v[12:13]
	s_delay_alu instid0(VALU_DEP_2)
	v_add_nc_u64_e32 v[12:13], v[8:9], v[14:15]
	ds_load_2addr_b64 v[8:11], v18 offset0:6 offset1:7
	v_cndmask_b32_e64 v16, 0, 1, vcc_lo
	s_wait_dscnt 0x1
	v_cmp_gt_i64_e32 vcc_lo, v[2:3], v[4:5]
	v_mov_b32_e32 v5, s39
	s_delay_alu instid0(VALU_DEP_3) | instskip(SKIP_3) | instid1(VALU_DEP_3)
	v_add_nc_u64_e32 v[12:13], v[12:13], v[16:17]
	v_cndmask_b32_e64 v14, 0, 1, vcc_lo
	v_cmp_gt_i64_e32 vcc_lo, v[2:3], v[6:7]
	v_mov_b32_e32 v7, s39
	v_add_nc_u64_e32 v[12:13], v[12:13], v[14:15]
	v_cndmask_b32_e64 v4, 0, 1, vcc_lo
	s_wait_dscnt 0x0
	v_cmp_gt_i64_e32 vcc_lo, v[2:3], v[8:9]
	v_mov_b32_e32 v9, s39
	s_delay_alu instid0(VALU_DEP_3) | instskip(SKIP_2) | instid1(VALU_DEP_2)
	v_add_nc_u64_e32 v[4:5], v[12:13], v[4:5]
	v_cndmask_b32_e64 v6, 0, 1, vcc_lo
	v_cmp_gt_i64_e32 vcc_lo, v[2:3], v[10:11]
	v_add_nc_u64_e32 v[4:5], v[4:5], v[6:7]
	v_cndmask_b32_e64 v8, 0, 1, vcc_lo
	s_delay_alu instid0(VALU_DEP_1)
	v_add_nc_u64_e32 v[4:5], v[4:5], v[8:9]
	s_cbranch_scc0 .LBB62_102
; %bb.103:                              ;   in Loop: Header=BB62_100 Depth=1
	s_mov_b64 s[8:9], s[2:3]
.LBB62_104:                             ;   in Loop: Header=BB62_100 Depth=1
	s_and_not1_b32 vcc_lo, exec_lo, s11
	s_cbranch_vccnz .LBB62_99
; %bb.105:                              ;   in Loop: Header=BB62_100 Depth=1
	s_lshl_b32 s8, s8, 3
	s_delay_alu instid0(SALU_CYCLE_1)
	s_add_co_i32 s13, s8, 0
	s_mov_b64 s[8:9], s[6:7]
.LBB62_106:                             ;   Parent Loop BB62_100 Depth=1
                                        ; =>  This Inner Loop Header: Depth=2
	v_dual_mov_b32 v6, s13 :: v_dual_mov_b32 v9, s39
	s_add_nc_u64 s[8:9], s[8:9], -1
	s_add_co_i32 s13, s13, 8
	s_cmp_lg_u64 s[8:9], 0
	ds_load_b64 v[6:7], v6
	s_wait_dscnt 0x0
	v_cmp_gt_i64_e32 vcc_lo, v[2:3], v[6:7]
	v_cndmask_b32_e64 v8, 0, 1, vcc_lo
	s_delay_alu instid0(VALU_DEP_1)
	v_add_nc_u64_e32 v[4:5], v[4:5], v[8:9]
	s_cbranch_scc1 .LBB62_106
	s_branch .LBB62_99
.LBB62_107:
	s_endpgm
	.section	.rodata,"a",@progbits
	.p2align	6, 0x0
	.amdhsa_kernel _ZN9rocsparseL35csrgemm_symbolic_fill_block_per_rowILj1024ELj64ELj8192ELj137ELj32EllEEvT5_PKS1_S3_PKT4_S3_S6_S3_S6_S3_S6_PS1_21rocsparse_index_base_S8_S8_S8_bb
		.amdhsa_group_segment_fixed_size 0
		.amdhsa_private_segment_fixed_size 0
		.amdhsa_kernarg_size 108
		.amdhsa_user_sgpr_count 2
		.amdhsa_user_sgpr_dispatch_ptr 0
		.amdhsa_user_sgpr_queue_ptr 0
		.amdhsa_user_sgpr_kernarg_segment_ptr 1
		.amdhsa_user_sgpr_dispatch_id 0
		.amdhsa_user_sgpr_kernarg_preload_length 0
		.amdhsa_user_sgpr_kernarg_preload_offset 0
		.amdhsa_user_sgpr_private_segment_size 0
		.amdhsa_wavefront_size32 1
		.amdhsa_uses_dynamic_stack 0
		.amdhsa_enable_private_segment 0
		.amdhsa_system_sgpr_workgroup_id_x 1
		.amdhsa_system_sgpr_workgroup_id_y 0
		.amdhsa_system_sgpr_workgroup_id_z 0
		.amdhsa_system_sgpr_workgroup_info 0
		.amdhsa_system_vgpr_workitem_id 0
		.amdhsa_next_free_vgpr 20
		.amdhsa_next_free_sgpr 76
		.amdhsa_named_barrier_count 0
		.amdhsa_reserve_vcc 1
		.amdhsa_float_round_mode_32 0
		.amdhsa_float_round_mode_16_64 0
		.amdhsa_float_denorm_mode_32 3
		.amdhsa_float_denorm_mode_16_64 3
		.amdhsa_fp16_overflow 0
		.amdhsa_memory_ordered 1
		.amdhsa_forward_progress 1
		.amdhsa_inst_pref_size 32
		.amdhsa_round_robin_scheduling 0
		.amdhsa_exception_fp_ieee_invalid_op 0
		.amdhsa_exception_fp_denorm_src 0
		.amdhsa_exception_fp_ieee_div_zero 0
		.amdhsa_exception_fp_ieee_overflow 0
		.amdhsa_exception_fp_ieee_underflow 0
		.amdhsa_exception_fp_ieee_inexact 0
		.amdhsa_exception_int_div_zero 0
	.end_amdhsa_kernel
	.section	.text._ZN9rocsparseL35csrgemm_symbolic_fill_block_per_rowILj1024ELj64ELj8192ELj137ELj32EllEEvT5_PKS1_S3_PKT4_S3_S6_S3_S6_S3_S6_PS1_21rocsparse_index_base_S8_S8_S8_bb,"axG",@progbits,_ZN9rocsparseL35csrgemm_symbolic_fill_block_per_rowILj1024ELj64ELj8192ELj137ELj32EllEEvT5_PKS1_S3_PKT4_S3_S6_S3_S6_S3_S6_PS1_21rocsparse_index_base_S8_S8_S8_bb,comdat
.Lfunc_end62:
	.size	_ZN9rocsparseL35csrgemm_symbolic_fill_block_per_rowILj1024ELj64ELj8192ELj137ELj32EllEEvT5_PKS1_S3_PKT4_S3_S6_S3_S6_S3_S6_PS1_21rocsparse_index_base_S8_S8_S8_bb, .Lfunc_end62-_ZN9rocsparseL35csrgemm_symbolic_fill_block_per_rowILj1024ELj64ELj8192ELj137ELj32EllEEvT5_PKS1_S3_PKT4_S3_S6_S3_S6_S3_S6_PS1_21rocsparse_index_base_S8_S8_S8_bb
                                        ; -- End function
	.set _ZN9rocsparseL35csrgemm_symbolic_fill_block_per_rowILj1024ELj64ELj8192ELj137ELj32EllEEvT5_PKS1_S3_PKT4_S3_S6_S3_S6_S3_S6_PS1_21rocsparse_index_base_S8_S8_S8_bb.num_vgpr, 20
	.set _ZN9rocsparseL35csrgemm_symbolic_fill_block_per_rowILj1024ELj64ELj8192ELj137ELj32EllEEvT5_PKS1_S3_PKT4_S3_S6_S3_S6_S3_S6_PS1_21rocsparse_index_base_S8_S8_S8_bb.num_agpr, 0
	.set _ZN9rocsparseL35csrgemm_symbolic_fill_block_per_rowILj1024ELj64ELj8192ELj137ELj32EllEEvT5_PKS1_S3_PKT4_S3_S6_S3_S6_S3_S6_PS1_21rocsparse_index_base_S8_S8_S8_bb.numbered_sgpr, 76
	.set _ZN9rocsparseL35csrgemm_symbolic_fill_block_per_rowILj1024ELj64ELj8192ELj137ELj32EllEEvT5_PKS1_S3_PKT4_S3_S6_S3_S6_S3_S6_PS1_21rocsparse_index_base_S8_S8_S8_bb.num_named_barrier, 0
	.set _ZN9rocsparseL35csrgemm_symbolic_fill_block_per_rowILj1024ELj64ELj8192ELj137ELj32EllEEvT5_PKS1_S3_PKT4_S3_S6_S3_S6_S3_S6_PS1_21rocsparse_index_base_S8_S8_S8_bb.private_seg_size, 0
	.set _ZN9rocsparseL35csrgemm_symbolic_fill_block_per_rowILj1024ELj64ELj8192ELj137ELj32EllEEvT5_PKS1_S3_PKT4_S3_S6_S3_S6_S3_S6_PS1_21rocsparse_index_base_S8_S8_S8_bb.uses_vcc, 1
	.set _ZN9rocsparseL35csrgemm_symbolic_fill_block_per_rowILj1024ELj64ELj8192ELj137ELj32EllEEvT5_PKS1_S3_PKT4_S3_S6_S3_S6_S3_S6_PS1_21rocsparse_index_base_S8_S8_S8_bb.uses_flat_scratch, 0
	.set _ZN9rocsparseL35csrgemm_symbolic_fill_block_per_rowILj1024ELj64ELj8192ELj137ELj32EllEEvT5_PKS1_S3_PKT4_S3_S6_S3_S6_S3_S6_PS1_21rocsparse_index_base_S8_S8_S8_bb.has_dyn_sized_stack, 0
	.set _ZN9rocsparseL35csrgemm_symbolic_fill_block_per_rowILj1024ELj64ELj8192ELj137ELj32EllEEvT5_PKS1_S3_PKT4_S3_S6_S3_S6_S3_S6_PS1_21rocsparse_index_base_S8_S8_S8_bb.has_recursion, 0
	.set _ZN9rocsparseL35csrgemm_symbolic_fill_block_per_rowILj1024ELj64ELj8192ELj137ELj32EllEEvT5_PKS1_S3_PKT4_S3_S6_S3_S6_S3_S6_PS1_21rocsparse_index_base_S8_S8_S8_bb.has_indirect_call, 0
	.section	.AMDGPU.csdata,"",@progbits
; Kernel info:
; codeLenInByte = 3996
; TotalNumSgprs: 78
; NumVgprs: 20
; ScratchSize: 0
; MemoryBound: 0
; FloatMode: 240
; IeeeMode: 1
; LDSByteSize: 0 bytes/workgroup (compile time only)
; SGPRBlocks: 0
; VGPRBlocks: 1
; NumSGPRsForWavesPerEU: 78
; NumVGPRsForWavesPerEU: 20
; NamedBarCnt: 0
; Occupancy: 16
; WaveLimiterHint : 1
; COMPUTE_PGM_RSRC2:SCRATCH_EN: 0
; COMPUTE_PGM_RSRC2:USER_SGPR: 2
; COMPUTE_PGM_RSRC2:TRAP_HANDLER: 0
; COMPUTE_PGM_RSRC2:TGID_X_EN: 1
; COMPUTE_PGM_RSRC2:TGID_Y_EN: 0
; COMPUTE_PGM_RSRC2:TGID_Z_EN: 0
; COMPUTE_PGM_RSRC2:TIDIG_COMP_CNT: 0
	.section	.text._ZN9rocsparseL35csrgemm_symbolic_fill_block_per_rowILj1024ELj64ELj8192ELj137ELj64EllEEvT5_PKS1_S3_PKT4_S3_S6_S3_S6_S3_S6_PS1_21rocsparse_index_base_S8_S8_S8_bb,"axG",@progbits,_ZN9rocsparseL35csrgemm_symbolic_fill_block_per_rowILj1024ELj64ELj8192ELj137ELj64EllEEvT5_PKS1_S3_PKT4_S3_S6_S3_S6_S3_S6_PS1_21rocsparse_index_base_S8_S8_S8_bb,comdat
	.globl	_ZN9rocsparseL35csrgemm_symbolic_fill_block_per_rowILj1024ELj64ELj8192ELj137ELj64EllEEvT5_PKS1_S3_PKT4_S3_S6_S3_S6_S3_S6_PS1_21rocsparse_index_base_S8_S8_S8_bb ; -- Begin function _ZN9rocsparseL35csrgemm_symbolic_fill_block_per_rowILj1024ELj64ELj8192ELj137ELj64EllEEvT5_PKS1_S3_PKT4_S3_S6_S3_S6_S3_S6_PS1_21rocsparse_index_base_S8_S8_S8_bb
	.p2align	8
	.type	_ZN9rocsparseL35csrgemm_symbolic_fill_block_per_rowILj1024ELj64ELj8192ELj137ELj64EllEEvT5_PKS1_S3_PKT4_S3_S6_S3_S6_S3_S6_PS1_21rocsparse_index_base_S8_S8_S8_bb,@function
_ZN9rocsparseL35csrgemm_symbolic_fill_block_per_rowILj1024ELj64ELj8192ELj137ELj64EllEEvT5_PKS1_S3_PKT4_S3_S6_S3_S6_S3_S6_PS1_21rocsparse_index_base_S8_S8_S8_bb: ; @_ZN9rocsparseL35csrgemm_symbolic_fill_block_per_rowILj1024ELj64ELj8192ELj137ELj64EllEEvT5_PKS1_S3_PKT4_S3_S6_S3_S6_S3_S6_PS1_21rocsparse_index_base_S8_S8_S8_bb
; %bb.0:
	s_clause 0x1
	s_load_b128 s[20:23], s[0:1], 0x0
	s_load_b64 s[2:3], s[0:1], 0x10
	v_lshl_add_u32 v15, v0, 3, 0
	s_bfe_u32 s7, ttmp6, 0x4000c
	s_and_b32 s6, ttmp6, 15
	s_add_co_i32 s7, s7, 1
	s_getreg_b32 s8, hwreg(HW_REG_IB_STS2, 6, 4)
	s_mul_i32 s7, ttmp9, s7
	s_load_b32 s14, s[0:1], 0x68
	s_add_co_i32 s6, s6, s7
	s_wait_kmcnt 0x0
	v_mov_b64_e32 v[2:3], s[20:21]
	v_mov_b64_e32 v[4:5], s[20:21]
	;; [unrolled: 1-line block ×8, first 2 shown]
	ds_store_2addr_stride64_b64 v15, v[2:3], v[4:5] offset1:16
	ds_store_2addr_stride64_b64 v15, v[6:7], v[8:9] offset0:32 offset1:48
	ds_store_2addr_stride64_b64 v15, v[10:11], v[12:13] offset0:64 offset1:80
	;; [unrolled: 1-line block ×3, first 2 shown]
	s_wait_dscnt 0x0
	s_barrier_signal -1
	s_barrier_wait -1
	s_load_b64 s[4:5], s[22:23], 0x0
	v_lshrrev_b32_e32 v2, 6, v0
	s_wait_kmcnt 0x0
	s_lshl_b64 s[4:5], s[4:5], 3
	s_cmp_eq_u32 s8, 0
	s_add_nc_u64 s[2:3], s[2:3], s[4:5]
	s_cselect_b32 s4, ttmp9, s6
	s_load_b128 s[16:19], s[0:1], 0x58
	s_load_b64 s[22:23], s[2:3], s4 offset:0x0 scale_offset
	s_bitcmp0_b32 s14, 0
	s_wait_xcnt 0x0
	s_mov_b32 s3, 0
	s_cbranch_scc1 .LBB63_16
; %bb.1:
	s_load_b64 s[4:5], s[0:1], 0x18
	s_wait_kmcnt 0x0
	s_lshl_b64 s[6:7], s[22:23], 3
	v_mov_b32_e32 v3, 0
	s_mov_b32 s2, s16
	s_mov_b32 s15, exec_lo
	s_delay_alu instid0(VALU_DEP_1) | instskip(SKIP_3) | instid1(VALU_DEP_1)
	v_sub_nc_u64_e64 v[4:5], v[2:3], s[2:3]
	s_add_nc_u64 s[8:9], s[4:5], s[6:7]
	s_load_b128 s[4:7], s[8:9], 0x0
	s_wait_kmcnt 0x0
	v_add_nc_u64_e32 v[4:5], s[4:5], v[4:5]
	s_sub_nc_u64 s[8:9], s[6:7], s[2:3]
	s_delay_alu instid0(VALU_DEP_1) | instid1(SALU_CYCLE_1)
	v_cmpx_gt_i64_e64 s[8:9], v[4:5]
	s_cbranch_execz .LBB63_15
; %bb.2:
	s_clause 0x1
	s_load_b128 s[4:7], s[0:1], 0x20
	s_load_b64 s[10:11], s[0:1], 0x30
	v_dual_mov_b32 v7, v3 :: v_dual_bitop2_b32 v6, 63, v0 bitop3:0x40
	s_mov_b32 s13, 0
	s_mov_b32 s12, s17
	;; [unrolled: 1-line block ×3, first 2 shown]
	s_delay_alu instid0(VALU_DEP_1)
	v_sub_nc_u64_e64 v[6:7], v[6:7], s[12:13]
	s_branch .LBB63_4
.LBB63_3:                               ;   in Loop: Header=BB63_4 Depth=1
	s_or_b32 exec_lo, exec_lo, s17
	v_add_nc_u64_e32 v[4:5], 16, v[4:5]
	s_delay_alu instid0(VALU_DEP_1) | instskip(SKIP_1) | instid1(SALU_CYCLE_1)
	v_cmp_le_i64_e32 vcc_lo, s[8:9], v[4:5]
	s_or_b32 s16, vcc_lo, s16
	s_and_not1_b32 exec_lo, exec_lo, s16
	s_cbranch_execz .LBB63_15
.LBB63_4:                               ; =>This Loop Header: Depth=1
                                        ;     Child Loop BB63_7 Depth 2
                                        ;       Child Loop BB63_10 Depth 3
	s_wait_kmcnt 0x0
	v_lshl_add_u64 v[8:9], v[4:5], 3, s[4:5]
	s_mov_b32 s17, exec_lo
	global_load_b64 v[8:9], v[8:9], off
	s_wait_loadcnt 0x0
	v_sub_nc_u64_e64 v[8:9], v[8:9], s[2:3]
	s_delay_alu instid0(VALU_DEP_1) | instskip(SKIP_4) | instid1(VALU_DEP_1)
	v_lshl_add_u64 v[8:9], v[8:9], 3, s[6:7]
	global_load_b128 v[10:13], v[8:9], off
	s_wait_loadcnt 0x0
	v_sub_nc_u64_e64 v[8:9], v[12:13], s[12:13]
	v_add_nc_u64_e32 v[10:11], v[10:11], v[6:7]
	v_cmpx_lt_i64_e64 v[10:11], v[8:9]
	s_cbranch_execz .LBB63_3
; %bb.5:                                ;   in Loop: Header=BB63_4 Depth=1
	s_mov_b32 s24, 0
	s_branch .LBB63_7
.LBB63_6:                               ;   in Loop: Header=BB63_7 Depth=2
	s_or_b32 exec_lo, exec_lo, s25
	v_add_nc_u64_e32 v[10:11], 64, v[10:11]
	s_delay_alu instid0(VALU_DEP_1) | instskip(SKIP_1) | instid1(SALU_CYCLE_1)
	v_cmp_ge_i64_e32 vcc_lo, v[10:11], v[8:9]
	s_or_b32 s24, vcc_lo, s24
	s_and_not1_b32 exec_lo, exec_lo, s24
	s_cbranch_execz .LBB63_3
.LBB63_7:                               ;   Parent Loop BB63_4 Depth=1
                                        ; =>  This Loop Header: Depth=2
                                        ;       Child Loop BB63_10 Depth 3
	v_lshl_add_u64 v[12:13], v[10:11], 3, s[10:11]
	s_mov_b32 s25, 0
                                        ; implicit-def: $sgpr26
	global_load_b64 v[12:13], v[12:13], off
	s_wait_loadcnt 0x0
	v_sub_nc_u64_e64 v[12:13], v[12:13], s[12:13]
	s_delay_alu instid0(VALU_DEP_1) | instskip(NEXT) | instid1(VALU_DEP_1)
	v_mul_lo_u32 v1, 0x89, v12
	v_and_b32_e32 v14, 0x1fff, v1
	s_branch .LBB63_10
.LBB63_8:                               ;   in Loop: Header=BB63_10 Depth=3
	s_or_b32 exec_lo, exec_lo, s28
	s_delay_alu instid0(SALU_CYCLE_1) | instskip(SKIP_1) | instid1(SALU_CYCLE_1)
	s_and_not1_b32 s26, s26, exec_lo
	s_and_b32 s28, s29, exec_lo
	s_or_b32 s26, s26, s28
.LBB63_9:                               ;   in Loop: Header=BB63_10 Depth=3
	s_or_b32 exec_lo, exec_lo, s27
	s_xor_b32 s27, s26, -1
	s_delay_alu instid0(SALU_CYCLE_1) | instskip(NEXT) | instid1(SALU_CYCLE_1)
	s_and_b32 s27, exec_lo, s27
	s_or_b32 s25, s27, s25
	s_delay_alu instid0(SALU_CYCLE_1)
	s_and_not1_b32 exec_lo, exec_lo, s25
	s_cbranch_execz .LBB63_6
.LBB63_10:                              ;   Parent Loop BB63_4 Depth=1
                                        ;     Parent Loop BB63_7 Depth=2
                                        ; =>    This Inner Loop Header: Depth=3
	s_delay_alu instid0(VALU_DEP_1)
	v_lshl_add_u32 v1, v14, 3, 0
	s_and_not1_b32 s26, s26, exec_lo
	s_mov_b32 s27, exec_lo
	ds_load_b64 v[16:17], v1
	s_wait_dscnt 0x0
	v_cmpx_ne_u64_e64 v[16:17], v[12:13]
	s_cbranch_execz .LBB63_9
; %bb.11:                               ;   in Loop: Header=BB63_10 Depth=3
	s_mov_b32 s28, exec_lo
	v_cmpx_ne_u64_e64 s[20:21], v[16:17]
	s_xor_b32 s28, exec_lo, s28
; %bb.12:                               ;   in Loop: Header=BB63_10 Depth=3
	v_add_nc_u32_e32 v1, 1, v14
	s_delay_alu instid0(VALU_DEP_1)
	v_and_b32_e32 v14, 0x1fff, v1
                                        ; implicit-def: $vgpr1
; %bb.13:                               ;   in Loop: Header=BB63_10 Depth=3
	s_or_saveexec_b32 s28, s28
	s_mov_b32 s29, -1
	s_xor_b32 exec_lo, exec_lo, s28
	s_cbranch_execz .LBB63_8
; %bb.14:                               ;   in Loop: Header=BB63_10 Depth=3
	v_mov_b64_e32 v[16:17], s[20:21]
	ds_cmpstore_rtn_b64 v[16:17], v1, v[12:13], v[16:17]
	s_wait_dscnt 0x0
	v_cmp_ne_u64_e32 vcc_lo, s[20:21], v[16:17]
	s_or_not1_b32 s29, vcc_lo, exec_lo
	s_branch .LBB63_8
.LBB63_15:
	s_or_b32 exec_lo, exec_lo, s15
.LBB63_16:
	s_bfe_u32 s2, s14, 0x10008
	s_delay_alu instid0(SALU_CYCLE_1)
	s_cmp_eq_u32 s2, 0
	s_cbranch_scc1 .LBB63_29
; %bb.17:
	s_load_b64 s[2:3], s[0:1], 0x38
	s_wait_kmcnt 0x0
	s_lshl_b64 s[4:5], s[22:23], 3
	v_mov_b32_e32 v1, 0
	s_mov_b32 s8, exec_lo
	s_add_nc_u64 s[2:3], s[2:3], s[4:5]
	s_load_b128 s[4:7], s[2:3], 0x0
	s_wait_xcnt 0x0
	s_mov_b32 s3, 0
	s_mov_b32 s2, s19
	s_delay_alu instid0(SALU_CYCLE_1) | instskip(SKIP_1) | instid1(VALU_DEP_1)
	v_sub_nc_u64_e64 v[4:5], v[0:1], s[2:3]
	s_wait_kmcnt 0x0
	v_add_nc_u64_e32 v[4:5], s[4:5], v[4:5]
	s_sub_nc_u64 s[4:5], s[6:7], s[2:3]
	s_delay_alu instid0(VALU_DEP_1) | instid1(SALU_CYCLE_1)
	v_cmpx_gt_i64_e64 s[4:5], v[4:5]
	s_cbranch_execz .LBB63_28
; %bb.18:
	s_load_b64 s[6:7], s[0:1], 0x40
	s_mov_b32 s9, s3
	s_branch .LBB63_20
.LBB63_19:                              ;   in Loop: Header=BB63_20 Depth=1
	s_or_b32 exec_lo, exec_lo, s10
	v_add_nc_u64_e32 v[4:5], 0x400, v[4:5]
	s_delay_alu instid0(VALU_DEP_1) | instskip(SKIP_1) | instid1(SALU_CYCLE_1)
	v_cmp_le_i64_e32 vcc_lo, s[4:5], v[4:5]
	s_or_b32 s9, vcc_lo, s9
	s_and_not1_b32 exec_lo, exec_lo, s9
	s_cbranch_execz .LBB63_28
.LBB63_20:                              ; =>This Loop Header: Depth=1
                                        ;     Child Loop BB63_23 Depth 2
	s_wait_kmcnt 0x0
	v_lshl_add_u64 v[6:7], v[4:5], 3, s[6:7]
	s_mov_b32 s10, 0
                                        ; implicit-def: $sgpr11
	global_load_b64 v[6:7], v[6:7], off
	s_wait_loadcnt 0x0
	v_sub_nc_u64_e64 v[6:7], v[6:7], s[2:3]
	s_delay_alu instid0(VALU_DEP_1) | instskip(NEXT) | instid1(VALU_DEP_1)
	v_mul_lo_u32 v1, 0x89, v6
	v_and_b32_e32 v8, 0x1fff, v1
	s_branch .LBB63_23
.LBB63_21:                              ;   in Loop: Header=BB63_23 Depth=2
	s_or_b32 exec_lo, exec_lo, s13
	s_delay_alu instid0(SALU_CYCLE_1) | instskip(SKIP_1) | instid1(SALU_CYCLE_1)
	s_and_not1_b32 s11, s11, exec_lo
	s_and_b32 s13, s14, exec_lo
	s_or_b32 s11, s11, s13
.LBB63_22:                              ;   in Loop: Header=BB63_23 Depth=2
	s_or_b32 exec_lo, exec_lo, s12
	s_xor_b32 s12, s11, -1
	s_delay_alu instid0(SALU_CYCLE_1) | instskip(NEXT) | instid1(SALU_CYCLE_1)
	s_and_b32 s12, exec_lo, s12
	s_or_b32 s10, s12, s10
	s_delay_alu instid0(SALU_CYCLE_1)
	s_and_not1_b32 exec_lo, exec_lo, s10
	s_cbranch_execz .LBB63_19
.LBB63_23:                              ;   Parent Loop BB63_20 Depth=1
                                        ; =>  This Inner Loop Header: Depth=2
	s_delay_alu instid0(VALU_DEP_1)
	v_lshl_add_u32 v1, v8, 3, 0
	s_and_not1_b32 s11, s11, exec_lo
	s_mov_b32 s12, exec_lo
	ds_load_b64 v[10:11], v1
	s_wait_dscnt 0x0
	v_cmpx_ne_u64_e64 v[10:11], v[6:7]
	s_cbranch_execz .LBB63_22
; %bb.24:                               ;   in Loop: Header=BB63_23 Depth=2
	s_mov_b32 s13, exec_lo
	v_cmpx_ne_u64_e64 s[20:21], v[10:11]
	s_xor_b32 s13, exec_lo, s13
; %bb.25:                               ;   in Loop: Header=BB63_23 Depth=2
	v_add_nc_u32_e32 v1, 1, v8
	s_delay_alu instid0(VALU_DEP_1)
	v_and_b32_e32 v8, 0x1fff, v1
                                        ; implicit-def: $vgpr1
; %bb.26:                               ;   in Loop: Header=BB63_23 Depth=2
	s_or_saveexec_b32 s13, s13
	s_mov_b32 s14, -1
	s_xor_b32 exec_lo, exec_lo, s13
	s_cbranch_execz .LBB63_21
; %bb.27:                               ;   in Loop: Header=BB63_23 Depth=2
	v_mov_b64_e32 v[10:11], s[20:21]
	ds_cmpstore_rtn_b64 v[10:11], v1, v[6:7], v[10:11]
	s_wait_dscnt 0x0
	v_cmp_ne_u64_e32 vcc_lo, s[20:21], v[10:11]
	s_or_not1_b32 s14, vcc_lo, exec_lo
	s_branch .LBB63_21
.LBB63_28:
	s_or_b32 exec_lo, exec_lo, s8
.LBB63_29:
	s_load_b128 s[24:27], s[0:1], 0x48
	v_mbcnt_lo_u32_b32 v1, -1, 0
	v_lshlrev_b32_e32 v2, 3, v2
	v_mov_b64_e32 v[6:7], 0
	s_add_co_i32 s38, 0, 0x10078
	s_delay_alu instid0(SALU_CYCLE_1)
	v_dual_mov_b32 v3, 0 :: v_dual_mov_b32 v12, s38
	v_xor_b32_e32 v4, 31, v1
	v_add3_u32 v1, 0x10000, 0, v2
	s_wait_xcnt 0x0
	v_cmp_lt_u32_e64 s0, 63, v0
	v_cmp_lt_u32_e64 s1, 0x7f, v0
	;; [unrolled: 1-line block ×3, first 2 shown]
	v_lshrrev_b32_e64 v4, v4, -1
	v_cmp_lt_u32_e64 s3, 0xff, v0
	v_cmp_lt_u32_e64 s4, 0x13f, v0
	;; [unrolled: 1-line block ×12, first 2 shown]
	v_or_b32_e32 v5, 0xfffffc00, v0
	s_wait_kmcnt 0x0
	s_mov_b32 s16, 0
	s_add_co_i32 s17, 0, 0x10000
	s_add_co_i32 s19, 0, 0x10008
	;; [unrolled: 1-line block ×15, first 2 shown]
	s_barrier_signal -1
	s_barrier_wait -1
	v_cmp_eq_u32_e32 vcc_lo, 0x3ff, v0
	s_branch .LBB63_31
.LBB63_30:                              ;   in Loop: Header=BB63_31 Depth=1
	s_or_b32 exec_lo, exec_lo, s15
	s_wait_dscnt 0x0
	s_barrier_signal -1
	s_barrier_wait -1
	ds_load_b64 v[8:9], v12
	v_add_nc_u32_e32 v5, 0x400, v5
	v_add_nc_u32_e32 v15, 0x2000, v15
	s_delay_alu instid0(VALU_DEP_2)
	v_cmp_lt_u32_e64 s15, 0x1bff, v5
	s_or_b32 s16, s15, s16
	s_wait_dscnt 0x0
	v_add_nc_u64_e32 v[6:7], v[8:9], v[6:7]
	s_and_not1_b32 exec_lo, exec_lo, s16
	s_cbranch_execz .LBB63_65
.LBB63_31:                              ; =>This Inner Loop Header: Depth=1
	ds_load_b64 v[8:9], v15
	s_wait_dscnt 0x0
	s_barrier_signal -1
	s_barrier_wait -1
	v_cmp_gt_i64_e64 s15, s[20:21], v[8:9]
	s_bcnt1_i32_b32 s43, s15
	s_delay_alu instid0(SALU_CYCLE_1) | instskip(NEXT) | instid1(VALU_DEP_1)
	v_dual_mov_b32 v2, s43 :: v_dual_bitop2_b32 v10, s15, v4 bitop3:0x40
	v_bcnt_u32_b32 v10, v10, 0
	ds_store_b64 v1, v[2:3]
	s_wait_dscnt 0x0
	s_barrier_signal -1
	s_barrier_wait -1
	s_and_saveexec_b32 s43, s0
	s_cbranch_execnz .LBB63_48
; %bb.32:                               ;   in Loop: Header=BB63_31 Depth=1
	s_or_b32 exec_lo, exec_lo, s43
	s_and_saveexec_b32 s43, s1
	s_cbranch_execnz .LBB63_49
.LBB63_33:                              ;   in Loop: Header=BB63_31 Depth=1
	s_or_b32 exec_lo, exec_lo, s43
	s_and_saveexec_b32 s43, s2
	s_cbranch_execnz .LBB63_50
.LBB63_34:                              ;   in Loop: Header=BB63_31 Depth=1
	s_or_b32 exec_lo, exec_lo, s43
	s_and_saveexec_b32 s43, s3
	s_cbranch_execnz .LBB63_51
.LBB63_35:                              ;   in Loop: Header=BB63_31 Depth=1
	s_or_b32 exec_lo, exec_lo, s43
	s_and_saveexec_b32 s43, s4
	s_cbranch_execnz .LBB63_52
.LBB63_36:                              ;   in Loop: Header=BB63_31 Depth=1
	s_or_b32 exec_lo, exec_lo, s43
	s_and_saveexec_b32 s43, s5
	s_cbranch_execnz .LBB63_53
.LBB63_37:                              ;   in Loop: Header=BB63_31 Depth=1
	s_or_b32 exec_lo, exec_lo, s43
	s_and_saveexec_b32 s43, s6
	s_cbranch_execnz .LBB63_54
.LBB63_38:                              ;   in Loop: Header=BB63_31 Depth=1
	s_or_b32 exec_lo, exec_lo, s43
	s_and_saveexec_b32 s43, s7
	s_cbranch_execnz .LBB63_55
.LBB63_39:                              ;   in Loop: Header=BB63_31 Depth=1
	s_or_b32 exec_lo, exec_lo, s43
	s_and_saveexec_b32 s43, s8
	s_cbranch_execnz .LBB63_56
.LBB63_40:                              ;   in Loop: Header=BB63_31 Depth=1
	s_or_b32 exec_lo, exec_lo, s43
	s_and_saveexec_b32 s43, s9
	s_cbranch_execnz .LBB63_57
.LBB63_41:                              ;   in Loop: Header=BB63_31 Depth=1
	s_or_b32 exec_lo, exec_lo, s43
	s_and_saveexec_b32 s43, s10
	s_cbranch_execnz .LBB63_58
.LBB63_42:                              ;   in Loop: Header=BB63_31 Depth=1
	s_or_b32 exec_lo, exec_lo, s43
	s_and_saveexec_b32 s43, s11
	s_cbranch_execnz .LBB63_59
.LBB63_43:                              ;   in Loop: Header=BB63_31 Depth=1
	s_or_b32 exec_lo, exec_lo, s43
	s_and_saveexec_b32 s43, s12
	s_cbranch_execnz .LBB63_60
.LBB63_44:                              ;   in Loop: Header=BB63_31 Depth=1
	s_or_b32 exec_lo, exec_lo, s43
	s_and_saveexec_b32 s43, s13
	s_cbranch_execnz .LBB63_61
.LBB63_45:                              ;   in Loop: Header=BB63_31 Depth=1
	s_or_b32 exec_lo, exec_lo, s43
	s_and_saveexec_b32 s43, s14
	s_cbranch_execnz .LBB63_62
.LBB63_46:                              ;   in Loop: Header=BB63_31 Depth=1
	s_or_b32 exec_lo, exec_lo, s43
	v_ashrrev_i32_e32 v11, 31, v10
	s_and_saveexec_b32 s43, s15
	s_cbranch_execnz .LBB63_63
.LBB63_47:                              ;   in Loop: Header=BB63_31 Depth=1
	s_or_b32 exec_lo, exec_lo, s43
	s_and_saveexec_b32 s15, vcc_lo
	s_cbranch_execz .LBB63_30
	s_branch .LBB63_64
.LBB63_48:                              ;   in Loop: Header=BB63_31 Depth=1
	v_mov_b32_e32 v2, s17
	ds_load_b32 v2, v2
	s_wait_dscnt 0x0
	v_add_nc_u32_e32 v10, v2, v10
	s_or_b32 exec_lo, exec_lo, s43
	s_and_saveexec_b32 s43, s1
	s_cbranch_execz .LBB63_33
.LBB63_49:                              ;   in Loop: Header=BB63_31 Depth=1
	v_mov_b32_e32 v2, s19
	ds_load_b32 v2, v2
	s_wait_dscnt 0x0
	v_add_nc_u32_e32 v10, v10, v2
	s_or_b32 exec_lo, exec_lo, s43
	s_and_saveexec_b32 s43, s2
	s_cbranch_execz .LBB63_34
.LBB63_50:                              ;   in Loop: Header=BB63_31 Depth=1
	v_mov_b32_e32 v2, s28
	ds_load_b32 v2, v2
	s_wait_dscnt 0x0
	v_add_nc_u32_e32 v10, v10, v2
	s_or_b32 exec_lo, exec_lo, s43
	s_and_saveexec_b32 s43, s3
	s_cbranch_execz .LBB63_35
.LBB63_51:                              ;   in Loop: Header=BB63_31 Depth=1
	v_mov_b32_e32 v2, s29
	ds_load_b32 v2, v2
	s_wait_dscnt 0x0
	v_add_nc_u32_e32 v10, v10, v2
	s_or_b32 exec_lo, exec_lo, s43
	s_and_saveexec_b32 s43, s4
	s_cbranch_execz .LBB63_36
.LBB63_52:                              ;   in Loop: Header=BB63_31 Depth=1
	v_mov_b32_e32 v2, s30
	ds_load_b32 v2, v2
	s_wait_dscnt 0x0
	v_add_nc_u32_e32 v10, v10, v2
	s_or_b32 exec_lo, exec_lo, s43
	s_and_saveexec_b32 s43, s5
	s_cbranch_execz .LBB63_37
.LBB63_53:                              ;   in Loop: Header=BB63_31 Depth=1
	v_mov_b32_e32 v2, s31
	ds_load_b32 v2, v2
	s_wait_dscnt 0x0
	v_add_nc_u32_e32 v10, v10, v2
	s_or_b32 exec_lo, exec_lo, s43
	s_and_saveexec_b32 s43, s6
	s_cbranch_execz .LBB63_38
.LBB63_54:                              ;   in Loop: Header=BB63_31 Depth=1
	v_mov_b32_e32 v2, s33
	ds_load_b32 v2, v2
	s_wait_dscnt 0x0
	v_add_nc_u32_e32 v10, v10, v2
	s_or_b32 exec_lo, exec_lo, s43
	s_and_saveexec_b32 s43, s7
	s_cbranch_execz .LBB63_39
.LBB63_55:                              ;   in Loop: Header=BB63_31 Depth=1
	v_mov_b32_e32 v2, s34
	ds_load_b32 v2, v2
	s_wait_dscnt 0x0
	v_add_nc_u32_e32 v10, v10, v2
	s_or_b32 exec_lo, exec_lo, s43
	s_and_saveexec_b32 s43, s8
	s_cbranch_execz .LBB63_40
.LBB63_56:                              ;   in Loop: Header=BB63_31 Depth=1
	v_mov_b32_e32 v2, s35
	ds_load_b32 v2, v2
	s_wait_dscnt 0x0
	v_add_nc_u32_e32 v10, v10, v2
	s_or_b32 exec_lo, exec_lo, s43
	s_and_saveexec_b32 s43, s9
	s_cbranch_execz .LBB63_41
.LBB63_57:                              ;   in Loop: Header=BB63_31 Depth=1
	v_mov_b32_e32 v2, s36
	ds_load_b32 v2, v2
	s_wait_dscnt 0x0
	v_add_nc_u32_e32 v10, v10, v2
	s_or_b32 exec_lo, exec_lo, s43
	s_and_saveexec_b32 s43, s10
	s_cbranch_execz .LBB63_42
.LBB63_58:                              ;   in Loop: Header=BB63_31 Depth=1
	v_mov_b32_e32 v2, s37
	ds_load_b32 v2, v2
	s_wait_dscnt 0x0
	v_add_nc_u32_e32 v10, v10, v2
	s_or_b32 exec_lo, exec_lo, s43
	s_and_saveexec_b32 s43, s11
	s_cbranch_execz .LBB63_43
.LBB63_59:                              ;   in Loop: Header=BB63_31 Depth=1
	v_mov_b32_e32 v2, s39
	ds_load_b32 v2, v2
	s_wait_dscnt 0x0
	v_add_nc_u32_e32 v10, v10, v2
	s_or_b32 exec_lo, exec_lo, s43
	s_and_saveexec_b32 s43, s12
	s_cbranch_execz .LBB63_44
.LBB63_60:                              ;   in Loop: Header=BB63_31 Depth=1
	v_mov_b32_e32 v2, s40
	ds_load_b32 v2, v2
	s_wait_dscnt 0x0
	v_add_nc_u32_e32 v10, v10, v2
	s_or_b32 exec_lo, exec_lo, s43
	s_and_saveexec_b32 s43, s13
	s_cbranch_execz .LBB63_45
.LBB63_61:                              ;   in Loop: Header=BB63_31 Depth=1
	v_mov_b32_e32 v2, s41
	ds_load_b32 v2, v2
	s_wait_dscnt 0x0
	v_add_nc_u32_e32 v10, v10, v2
	s_or_b32 exec_lo, exec_lo, s43
	s_and_saveexec_b32 s43, s14
	s_cbranch_execz .LBB63_46
.LBB63_62:                              ;   in Loop: Header=BB63_31 Depth=1
	v_mov_b32_e32 v2, s42
	ds_load_b32 v2, v2
	s_wait_dscnt 0x0
	v_add_nc_u32_e32 v10, v10, v2
	s_or_b32 exec_lo, exec_lo, s43
	s_delay_alu instid0(VALU_DEP_1)
	v_ashrrev_i32_e32 v11, 31, v10
	s_and_saveexec_b32 s43, s15
	s_cbranch_execz .LBB63_47
.LBB63_63:                              ;   in Loop: Header=BB63_31 Depth=1
	v_lshlrev_b32_e32 v2, 3, v6
	v_lshlrev_b32_e32 v13, 3, v10
	s_delay_alu instid0(VALU_DEP_2) | instskip(NEXT) | instid1(VALU_DEP_1)
	v_add_nc_u32_e32 v2, 0, v2
	v_add3_u32 v2, v2, v13, -8
	ds_store_b64 v2, v[8:9]
	s_or_b32 exec_lo, exec_lo, s43
	s_and_saveexec_b32 s15, vcc_lo
	s_cbranch_execz .LBB63_30
.LBB63_64:                              ;   in Loop: Header=BB63_31 Depth=1
	v_mov_b32_e32 v2, s38
	ds_store_b64 v2, v[10:11]
	s_branch .LBB63_30
.LBB63_65:
	s_or_b32 exec_lo, exec_lo, s16
	s_lshl_b64 s[0:1], s[22:23], 3
	v_mov_b32_e32 v1, 0
	s_add_nc_u64 s[4:5], s[24:25], s[0:1]
	s_mov_b32 s6, exec_lo
	s_load_b128 s[0:3], s[4:5], 0x0
	s_wait_kmcnt 0x0
	s_sub_nc_u64 s[4:5], s[2:3], s[0:1]
	s_delay_alu instid0(SALU_CYCLE_1)
	v_cmpx_gt_i64_e64 s[4:5], v[0:1]
	s_cbranch_execz .LBB63_75
; %bb.66:
	s_sub_nc_u64 s[8:9], s[0:1], s[2:3]
	s_and_b64 s[6:7], s[4:5], 7
	v_cmp_lt_u64_e64 s10, s[8:9], -7
	s_and_b64 s[2:3], s[4:5], -8
	s_mov_b32 s19, 0
	s_cmp_lg_u64 s[6:7], 0
	s_sub_nc_u64 s[0:1], s[0:1], s[18:19]
	s_cselect_b32 s11, -1, 0
	s_mov_b32 s12, s19
	s_branch .LBB63_68
.LBB63_67:                              ;   in Loop: Header=BB63_68 Depth=1
	v_add_nc_u64_e32 v[0:1], 0x400, v[0:1]
	s_wait_dscnt 0x0
	v_add_nc_u64_e32 v[2:3], s[18:19], v[2:3]
	s_delay_alu instid0(VALU_DEP_3) | instskip(NEXT) | instid1(VALU_DEP_3)
	v_lshl_add_u64 v[4:5], v[4:5], 3, s[26:27]
	v_cmp_le_i64_e32 vcc_lo, s[4:5], v[0:1]
	global_store_b64 v[4:5], v[2:3], off
	s_or_b32 s12, vcc_lo, s12
	s_wait_xcnt 0x0
	s_and_not1_b32 exec_lo, exec_lo, s12
	s_cbranch_execz .LBB63_75
.LBB63_68:                              ; =>This Loop Header: Depth=1
                                        ;     Child Loop BB63_70 Depth 2
                                        ;     Child Loop BB63_74 Depth 2
	v_lshl_add_u32 v2, v0, 3, 0
	v_mov_b64_e32 v[4:5], s[0:1]
	s_and_not1_b32 vcc_lo, exec_lo, s10
	s_mov_b64 s[8:9], 0
	ds_load_b64 v[2:3], v2
	s_cbranch_vccnz .LBB63_72
; %bb.69:                               ;   in Loop: Header=BB63_68 Depth=1
	v_mov_b64_e32 v[4:5], s[0:1]
	s_mov_b32 s13, 0
.LBB63_70:                              ;   Parent Loop BB63_68 Depth=1
                                        ; =>  This Inner Loop Header: Depth=2
	s_delay_alu instid0(SALU_CYCLE_1)
	v_dual_mov_b32 v18, s13 :: v_dual_mov_b32 v15, s19
	v_mov_b32_e32 v17, s19
	s_add_nc_u64 s[8:9], s[8:9], 8
	s_add_co_i32 s13, s13, 64
	ds_load_2addr_b64 v[6:9], v18 offset1:1
	ds_load_2addr_b64 v[10:13], v18 offset0:2 offset1:3
	s_cmp_eq_u64 s[2:3], s[8:9]
	s_wait_dscnt 0x1
	v_cmp_gt_i64_e32 vcc_lo, v[2:3], v[6:7]
	v_cndmask_b32_e64 v14, 0, 1, vcc_lo
	v_cmp_gt_i64_e32 vcc_lo, v[2:3], v[8:9]
	s_delay_alu instid0(VALU_DEP_2) | instskip(SKIP_4) | instid1(VALU_DEP_2)
	v_add_nc_u64_e32 v[8:9], v[4:5], v[14:15]
	ds_load_2addr_b64 v[4:7], v18 offset0:4 offset1:5
	v_cndmask_b32_e64 v16, 0, 1, vcc_lo
	s_wait_dscnt 0x1
	v_cmp_gt_i64_e32 vcc_lo, v[2:3], v[10:11]
	v_add_nc_u64_e32 v[8:9], v[8:9], v[16:17]
	v_cndmask_b32_e64 v14, 0, 1, vcc_lo
	v_cmp_gt_i64_e32 vcc_lo, v[2:3], v[12:13]
	s_delay_alu instid0(VALU_DEP_2)
	v_add_nc_u64_e32 v[12:13], v[8:9], v[14:15]
	ds_load_2addr_b64 v[8:11], v18 offset0:6 offset1:7
	v_cndmask_b32_e64 v16, 0, 1, vcc_lo
	s_wait_dscnt 0x1
	v_cmp_gt_i64_e32 vcc_lo, v[2:3], v[4:5]
	v_mov_b32_e32 v5, s19
	s_delay_alu instid0(VALU_DEP_3) | instskip(SKIP_3) | instid1(VALU_DEP_3)
	v_add_nc_u64_e32 v[12:13], v[12:13], v[16:17]
	v_cndmask_b32_e64 v14, 0, 1, vcc_lo
	v_cmp_gt_i64_e32 vcc_lo, v[2:3], v[6:7]
	v_mov_b32_e32 v7, s19
	v_add_nc_u64_e32 v[12:13], v[12:13], v[14:15]
	v_cndmask_b32_e64 v4, 0, 1, vcc_lo
	s_wait_dscnt 0x0
	v_cmp_gt_i64_e32 vcc_lo, v[2:3], v[8:9]
	v_mov_b32_e32 v9, s19
	s_delay_alu instid0(VALU_DEP_3) | instskip(SKIP_2) | instid1(VALU_DEP_2)
	v_add_nc_u64_e32 v[4:5], v[12:13], v[4:5]
	v_cndmask_b32_e64 v6, 0, 1, vcc_lo
	v_cmp_gt_i64_e32 vcc_lo, v[2:3], v[10:11]
	v_add_nc_u64_e32 v[4:5], v[4:5], v[6:7]
	v_cndmask_b32_e64 v8, 0, 1, vcc_lo
	s_delay_alu instid0(VALU_DEP_1)
	v_add_nc_u64_e32 v[4:5], v[4:5], v[8:9]
	s_cbranch_scc0 .LBB63_70
; %bb.71:                               ;   in Loop: Header=BB63_68 Depth=1
	s_mov_b64 s[8:9], s[2:3]
.LBB63_72:                              ;   in Loop: Header=BB63_68 Depth=1
	s_and_not1_b32 vcc_lo, exec_lo, s11
	s_cbranch_vccnz .LBB63_67
; %bb.73:                               ;   in Loop: Header=BB63_68 Depth=1
	s_lshl_b32 s8, s8, 3
	s_delay_alu instid0(SALU_CYCLE_1)
	s_add_co_i32 s13, s8, 0
	s_mov_b64 s[8:9], s[6:7]
.LBB63_74:                              ;   Parent Loop BB63_68 Depth=1
                                        ; =>  This Inner Loop Header: Depth=2
	v_dual_mov_b32 v6, s13 :: v_dual_mov_b32 v9, s19
	s_add_nc_u64 s[8:9], s[8:9], -1
	s_add_co_i32 s13, s13, 8
	s_cmp_lg_u64 s[8:9], 0
	ds_load_b64 v[6:7], v6
	s_wait_dscnt 0x0
	v_cmp_gt_i64_e32 vcc_lo, v[2:3], v[6:7]
	v_cndmask_b32_e64 v8, 0, 1, vcc_lo
	s_delay_alu instid0(VALU_DEP_1)
	v_add_nc_u64_e32 v[4:5], v[4:5], v[8:9]
	s_cbranch_scc1 .LBB63_74
	s_branch .LBB63_67
.LBB63_75:
	s_endpgm
	.section	.rodata,"a",@progbits
	.p2align	6, 0x0
	.amdhsa_kernel _ZN9rocsparseL35csrgemm_symbolic_fill_block_per_rowILj1024ELj64ELj8192ELj137ELj64EllEEvT5_PKS1_S3_PKT4_S3_S6_S3_S6_S3_S6_PS1_21rocsparse_index_base_S8_S8_S8_bb
		.amdhsa_group_segment_fixed_size 0
		.amdhsa_private_segment_fixed_size 0
		.amdhsa_kernarg_size 108
		.amdhsa_user_sgpr_count 2
		.amdhsa_user_sgpr_dispatch_ptr 0
		.amdhsa_user_sgpr_queue_ptr 0
		.amdhsa_user_sgpr_kernarg_segment_ptr 1
		.amdhsa_user_sgpr_dispatch_id 0
		.amdhsa_user_sgpr_kernarg_preload_length 0
		.amdhsa_user_sgpr_kernarg_preload_offset 0
		.amdhsa_user_sgpr_private_segment_size 0
		.amdhsa_wavefront_size32 1
		.amdhsa_uses_dynamic_stack 0
		.amdhsa_enable_private_segment 0
		.amdhsa_system_sgpr_workgroup_id_x 1
		.amdhsa_system_sgpr_workgroup_id_y 0
		.amdhsa_system_sgpr_workgroup_id_z 0
		.amdhsa_system_sgpr_workgroup_info 0
		.amdhsa_system_vgpr_workitem_id 0
		.amdhsa_next_free_vgpr 20
		.amdhsa_next_free_sgpr 44
		.amdhsa_named_barrier_count 0
		.amdhsa_reserve_vcc 1
		.amdhsa_float_round_mode_32 0
		.amdhsa_float_round_mode_16_64 0
		.amdhsa_float_denorm_mode_32 3
		.amdhsa_float_denorm_mode_16_64 3
		.amdhsa_fp16_overflow 0
		.amdhsa_memory_ordered 1
		.amdhsa_forward_progress 1
		.amdhsa_inst_pref_size 24
		.amdhsa_round_robin_scheduling 0
		.amdhsa_exception_fp_ieee_invalid_op 0
		.amdhsa_exception_fp_denorm_src 0
		.amdhsa_exception_fp_ieee_div_zero 0
		.amdhsa_exception_fp_ieee_overflow 0
		.amdhsa_exception_fp_ieee_underflow 0
		.amdhsa_exception_fp_ieee_inexact 0
		.amdhsa_exception_int_div_zero 0
	.end_amdhsa_kernel
	.section	.text._ZN9rocsparseL35csrgemm_symbolic_fill_block_per_rowILj1024ELj64ELj8192ELj137ELj64EllEEvT5_PKS1_S3_PKT4_S3_S6_S3_S6_S3_S6_PS1_21rocsparse_index_base_S8_S8_S8_bb,"axG",@progbits,_ZN9rocsparseL35csrgemm_symbolic_fill_block_per_rowILj1024ELj64ELj8192ELj137ELj64EllEEvT5_PKS1_S3_PKT4_S3_S6_S3_S6_S3_S6_PS1_21rocsparse_index_base_S8_S8_S8_bb,comdat
.Lfunc_end63:
	.size	_ZN9rocsparseL35csrgemm_symbolic_fill_block_per_rowILj1024ELj64ELj8192ELj137ELj64EllEEvT5_PKS1_S3_PKT4_S3_S6_S3_S6_S3_S6_PS1_21rocsparse_index_base_S8_S8_S8_bb, .Lfunc_end63-_ZN9rocsparseL35csrgemm_symbolic_fill_block_per_rowILj1024ELj64ELj8192ELj137ELj64EllEEvT5_PKS1_S3_PKT4_S3_S6_S3_S6_S3_S6_PS1_21rocsparse_index_base_S8_S8_S8_bb
                                        ; -- End function
	.set _ZN9rocsparseL35csrgemm_symbolic_fill_block_per_rowILj1024ELj64ELj8192ELj137ELj64EllEEvT5_PKS1_S3_PKT4_S3_S6_S3_S6_S3_S6_PS1_21rocsparse_index_base_S8_S8_S8_bb.num_vgpr, 20
	.set _ZN9rocsparseL35csrgemm_symbolic_fill_block_per_rowILj1024ELj64ELj8192ELj137ELj64EllEEvT5_PKS1_S3_PKT4_S3_S6_S3_S6_S3_S6_PS1_21rocsparse_index_base_S8_S8_S8_bb.num_agpr, 0
	.set _ZN9rocsparseL35csrgemm_symbolic_fill_block_per_rowILj1024ELj64ELj8192ELj137ELj64EllEEvT5_PKS1_S3_PKT4_S3_S6_S3_S6_S3_S6_PS1_21rocsparse_index_base_S8_S8_S8_bb.numbered_sgpr, 44
	.set _ZN9rocsparseL35csrgemm_symbolic_fill_block_per_rowILj1024ELj64ELj8192ELj137ELj64EllEEvT5_PKS1_S3_PKT4_S3_S6_S3_S6_S3_S6_PS1_21rocsparse_index_base_S8_S8_S8_bb.num_named_barrier, 0
	.set _ZN9rocsparseL35csrgemm_symbolic_fill_block_per_rowILj1024ELj64ELj8192ELj137ELj64EllEEvT5_PKS1_S3_PKT4_S3_S6_S3_S6_S3_S6_PS1_21rocsparse_index_base_S8_S8_S8_bb.private_seg_size, 0
	.set _ZN9rocsparseL35csrgemm_symbolic_fill_block_per_rowILj1024ELj64ELj8192ELj137ELj64EllEEvT5_PKS1_S3_PKT4_S3_S6_S3_S6_S3_S6_PS1_21rocsparse_index_base_S8_S8_S8_bb.uses_vcc, 1
	.set _ZN9rocsparseL35csrgemm_symbolic_fill_block_per_rowILj1024ELj64ELj8192ELj137ELj64EllEEvT5_PKS1_S3_PKT4_S3_S6_S3_S6_S3_S6_PS1_21rocsparse_index_base_S8_S8_S8_bb.uses_flat_scratch, 0
	.set _ZN9rocsparseL35csrgemm_symbolic_fill_block_per_rowILj1024ELj64ELj8192ELj137ELj64EllEEvT5_PKS1_S3_PKT4_S3_S6_S3_S6_S3_S6_PS1_21rocsparse_index_base_S8_S8_S8_bb.has_dyn_sized_stack, 0
	.set _ZN9rocsparseL35csrgemm_symbolic_fill_block_per_rowILj1024ELj64ELj8192ELj137ELj64EllEEvT5_PKS1_S3_PKT4_S3_S6_S3_S6_S3_S6_PS1_21rocsparse_index_base_S8_S8_S8_bb.has_recursion, 0
	.set _ZN9rocsparseL35csrgemm_symbolic_fill_block_per_rowILj1024ELj64ELj8192ELj137ELj64EllEEvT5_PKS1_S3_PKT4_S3_S6_S3_S6_S3_S6_PS1_21rocsparse_index_base_S8_S8_S8_bb.has_indirect_call, 0
	.section	.AMDGPU.csdata,"",@progbits
; Kernel info:
; codeLenInByte = 2984
; TotalNumSgprs: 46
; NumVgprs: 20
; ScratchSize: 0
; MemoryBound: 0
; FloatMode: 240
; IeeeMode: 1
; LDSByteSize: 0 bytes/workgroup (compile time only)
; SGPRBlocks: 0
; VGPRBlocks: 1
; NumSGPRsForWavesPerEU: 46
; NumVGPRsForWavesPerEU: 20
; NamedBarCnt: 0
; Occupancy: 16
; WaveLimiterHint : 1
; COMPUTE_PGM_RSRC2:SCRATCH_EN: 0
; COMPUTE_PGM_RSRC2:USER_SGPR: 2
; COMPUTE_PGM_RSRC2:TRAP_HANDLER: 0
; COMPUTE_PGM_RSRC2:TGID_X_EN: 1
; COMPUTE_PGM_RSRC2:TGID_Y_EN: 0
; COMPUTE_PGM_RSRC2:TGID_Z_EN: 0
; COMPUTE_PGM_RSRC2:TIDIG_COMP_CNT: 0
	.section	.text._ZN9rocsparseL35csrgemm_symbolic_fill_block_per_rowILj1024ELj64ELj16384ELj137ELj32EllEEvT5_PKS1_S3_PKT4_S3_S6_S3_S6_S3_S6_PS1_21rocsparse_index_base_S8_S8_S8_bb,"axG",@progbits,_ZN9rocsparseL35csrgemm_symbolic_fill_block_per_rowILj1024ELj64ELj16384ELj137ELj32EllEEvT5_PKS1_S3_PKT4_S3_S6_S3_S6_S3_S6_PS1_21rocsparse_index_base_S8_S8_S8_bb,comdat
	.globl	_ZN9rocsparseL35csrgemm_symbolic_fill_block_per_rowILj1024ELj64ELj16384ELj137ELj32EllEEvT5_PKS1_S3_PKT4_S3_S6_S3_S6_S3_S6_PS1_21rocsparse_index_base_S8_S8_S8_bb ; -- Begin function _ZN9rocsparseL35csrgemm_symbolic_fill_block_per_rowILj1024ELj64ELj16384ELj137ELj32EllEEvT5_PKS1_S3_PKT4_S3_S6_S3_S6_S3_S6_PS1_21rocsparse_index_base_S8_S8_S8_bb
	.p2align	8
	.type	_ZN9rocsparseL35csrgemm_symbolic_fill_block_per_rowILj1024ELj64ELj16384ELj137ELj32EllEEvT5_PKS1_S3_PKT4_S3_S6_S3_S6_S3_S6_PS1_21rocsparse_index_base_S8_S8_S8_bb,@function
_ZN9rocsparseL35csrgemm_symbolic_fill_block_per_rowILj1024ELj64ELj16384ELj137ELj32EllEEvT5_PKS1_S3_PKT4_S3_S6_S3_S6_S3_S6_PS1_21rocsparse_index_base_S8_S8_S8_bb: ; @_ZN9rocsparseL35csrgemm_symbolic_fill_block_per_rowILj1024ELj64ELj16384ELj137ELj32EllEEvT5_PKS1_S3_PKT4_S3_S6_S3_S6_S3_S6_PS1_21rocsparse_index_base_S8_S8_S8_bb
; %bb.0:
	s_clause 0x3
	s_load_b256 s[36:43], s[0:1], 0x0
	s_load_b64 s[34:35], s[0:1], 0x50
	s_load_b128 s[48:51], s[0:1], 0x40
	s_load_b256 s[4:11], s[0:1], 0x20
	v_lshl_add_u32 v13, v0, 3, 0
	v_or_b32_e32 v16, 0xfffffc00, v0
	s_mov_b32 s2, 0
	s_delay_alu instid0(VALU_DEP_1)
	v_dual_mov_b32 v1, v13 :: v_dual_mov_b32 v4, v16
	s_wait_kmcnt 0x0
	v_mov_b64_e32 v[2:3], s[36:37]
.LBB64_1:                               ; =>This Inner Loop Header: Depth=1
	s_delay_alu instid0(VALU_DEP_2) | instskip(SKIP_4) | instid1(SALU_CYCLE_1)
	v_add_nc_u32_e32 v4, 0x400, v4
	ds_store_b64 v1, v[2:3]
	v_add_nc_u32_e32 v1, 0x2000, v1
	v_cmp_lt_u32_e32 vcc_lo, 0x3bff, v4
	s_or_b32 s2, vcc_lo, s2
	s_and_not1_b32 exec_lo, exec_lo, s2
	s_cbranch_execnz .LBB64_1
; %bb.2:
	s_or_b32 exec_lo, exec_lo, s2
	s_load_b32 s14, s[0:1], 0x68
	s_wait_dscnt 0x0
	s_barrier_signal -1
	s_barrier_wait -1
	s_load_b64 s[2:3], s[38:39], 0x0
	s_getreg_b32 s16, hwreg(HW_REG_IB_STS2, 6, 4)
	s_wait_kmcnt 0x0
	s_bitcmp1_b32 s14, 0
	s_cselect_b32 s12, -1, 0
	s_bfe_u32 s13, ttmp6, 0x4000c
	s_and_b32 s15, ttmp6, 15
	s_add_co_i32 s13, s13, 1
	s_lshl_b64 s[2:3], s[2:3], 3
	s_mul_i32 s13, ttmp9, s13
	s_add_nc_u64 s[2:3], s[40:41], s[2:3]
	s_add_co_i32 s15, s15, s13
	s_cmp_eq_u32 s16, 0
	s_cselect_b32 s13, ttmp9, s15
	s_load_b128 s[44:47], s[0:1], 0x58
	s_load_b64 s[38:39], s[2:3], s13 offset:0x0 scale_offset
	s_and_b32 vcc_lo, exec_lo, s12
	s_wait_xcnt 0x0
	s_mov_b32 s1, 0
	s_cbranch_vccz .LBB64_18
; %bb.3:
	s_wait_kmcnt 0x0
	s_lshl_b64 s[2:3], s[38:39], 3
	v_dual_mov_b32 v5, 0 :: v_dual_lshrrev_b32 v4, 6, v0
	s_add_nc_u64 s[2:3], s[42:43], s[2:3]
	s_mov_b32 s0, s44
	s_load_b128 s[16:19], s[2:3], 0x0
	s_mov_b32 s15, exec_lo
	v_sub_nc_u64_e64 v[2:3], v[4:5], s[0:1]
	s_wait_kmcnt 0x0
	s_delay_alu instid0(VALU_DEP_1)
	v_add_nc_u64_e32 v[2:3], s[16:17], v[2:3]
	s_sub_nc_u64 s[2:3], s[18:19], s[0:1]
	s_delay_alu instid0(VALU_DEP_1) | instid1(SALU_CYCLE_1)
	v_cmpx_gt_i64_e64 s[2:3], v[2:3]
	s_cbranch_execz .LBB64_17
; %bb.4:
	v_and_b32_e32 v4, 63, v0
	s_mov_b32 s13, 0
	s_mov_b32 s12, s45
	;; [unrolled: 1-line block ×3, first 2 shown]
	s_delay_alu instid0(VALU_DEP_1)
	v_sub_nc_u64_e64 v[4:5], v[4:5], s[12:13]
	s_branch .LBB64_6
.LBB64_5:                               ;   in Loop: Header=BB64_6 Depth=1
	s_or_b32 exec_lo, exec_lo, s17
	v_add_nc_u64_e32 v[2:3], 16, v[2:3]
	s_delay_alu instid0(VALU_DEP_1) | instskip(SKIP_1) | instid1(SALU_CYCLE_1)
	v_cmp_le_i64_e32 vcc_lo, s[2:3], v[2:3]
	s_or_b32 s16, vcc_lo, s16
	s_and_not1_b32 exec_lo, exec_lo, s16
	s_cbranch_execz .LBB64_17
.LBB64_6:                               ; =>This Loop Header: Depth=1
                                        ;     Child Loop BB64_9 Depth 2
                                        ;       Child Loop BB64_12 Depth 3
	v_lshl_add_u64 v[6:7], v[2:3], 3, s[4:5]
	s_mov_b32 s17, exec_lo
	global_load_b64 v[6:7], v[6:7], off
	s_wait_loadcnt 0x0
	v_sub_nc_u64_e64 v[6:7], v[6:7], s[0:1]
	s_delay_alu instid0(VALU_DEP_1) | instskip(SKIP_4) | instid1(VALU_DEP_1)
	v_lshl_add_u64 v[6:7], v[6:7], 3, s[6:7]
	global_load_b128 v[8:11], v[6:7], off
	s_wait_loadcnt 0x0
	v_sub_nc_u64_e64 v[6:7], v[10:11], s[12:13]
	v_add_nc_u64_e32 v[8:9], v[8:9], v[4:5]
	v_cmpx_lt_i64_e64 v[8:9], v[6:7]
	s_cbranch_execz .LBB64_5
; %bb.7:                                ;   in Loop: Header=BB64_6 Depth=1
	s_mov_b32 s18, 0
	s_branch .LBB64_9
.LBB64_8:                               ;   in Loop: Header=BB64_9 Depth=2
	s_or_b32 exec_lo, exec_lo, s19
	v_add_nc_u64_e32 v[8:9], 64, v[8:9]
	s_delay_alu instid0(VALU_DEP_1) | instskip(SKIP_1) | instid1(SALU_CYCLE_1)
	v_cmp_ge_i64_e32 vcc_lo, v[8:9], v[6:7]
	s_or_b32 s18, vcc_lo, s18
	s_and_not1_b32 exec_lo, exec_lo, s18
	s_cbranch_execz .LBB64_5
.LBB64_9:                               ;   Parent Loop BB64_6 Depth=1
                                        ; =>  This Loop Header: Depth=2
                                        ;       Child Loop BB64_12 Depth 3
	v_lshl_add_u64 v[10:11], v[8:9], 3, s[8:9]
	s_mov_b32 s19, 0
                                        ; implicit-def: $sgpr20
	global_load_b64 v[10:11], v[10:11], off
	s_wait_loadcnt 0x0
	v_sub_nc_u64_e64 v[10:11], v[10:11], s[12:13]
	s_delay_alu instid0(VALU_DEP_1) | instskip(NEXT) | instid1(VALU_DEP_1)
	v_mul_lo_u32 v1, 0x89, v10
	v_and_b32_e32 v12, 0x3fff, v1
	s_branch .LBB64_12
.LBB64_10:                              ;   in Loop: Header=BB64_12 Depth=3
	s_or_b32 exec_lo, exec_lo, s22
	s_delay_alu instid0(SALU_CYCLE_1) | instskip(SKIP_1) | instid1(SALU_CYCLE_1)
	s_and_not1_b32 s20, s20, exec_lo
	s_and_b32 s22, s23, exec_lo
	s_or_b32 s20, s20, s22
.LBB64_11:                              ;   in Loop: Header=BB64_12 Depth=3
	s_or_b32 exec_lo, exec_lo, s21
	s_xor_b32 s21, s20, -1
	s_delay_alu instid0(SALU_CYCLE_1) | instskip(NEXT) | instid1(SALU_CYCLE_1)
	s_and_b32 s21, exec_lo, s21
	s_or_b32 s19, s21, s19
	s_delay_alu instid0(SALU_CYCLE_1)
	s_and_not1_b32 exec_lo, exec_lo, s19
	s_cbranch_execz .LBB64_8
.LBB64_12:                              ;   Parent Loop BB64_6 Depth=1
                                        ;     Parent Loop BB64_9 Depth=2
                                        ; =>    This Inner Loop Header: Depth=3
	s_delay_alu instid0(VALU_DEP_1)
	v_lshl_add_u32 v1, v12, 3, 0
	s_and_not1_b32 s20, s20, exec_lo
	s_mov_b32 s21, exec_lo
	ds_load_b64 v[14:15], v1
	s_wait_dscnt 0x0
	v_cmpx_ne_u64_e64 v[14:15], v[10:11]
	s_cbranch_execz .LBB64_11
; %bb.13:                               ;   in Loop: Header=BB64_12 Depth=3
	s_mov_b32 s22, exec_lo
	v_cmpx_ne_u64_e64 s[36:37], v[14:15]
	s_xor_b32 s22, exec_lo, s22
; %bb.14:                               ;   in Loop: Header=BB64_12 Depth=3
	v_add_nc_u32_e32 v1, 1, v12
	s_delay_alu instid0(VALU_DEP_1)
	v_and_b32_e32 v12, 0x3fff, v1
                                        ; implicit-def: $vgpr1
; %bb.15:                               ;   in Loop: Header=BB64_12 Depth=3
	s_or_saveexec_b32 s22, s22
	s_mov_b32 s23, -1
	s_xor_b32 exec_lo, exec_lo, s22
	s_cbranch_execz .LBB64_10
; %bb.16:                               ;   in Loop: Header=BB64_12 Depth=3
	v_mov_b64_e32 v[14:15], s[36:37]
	ds_cmpstore_rtn_b64 v[14:15], v1, v[10:11], v[14:15]
	s_wait_dscnt 0x0
	v_cmp_ne_u64_e32 vcc_lo, s[36:37], v[14:15]
	s_or_not1_b32 s23, vcc_lo, exec_lo
	s_branch .LBB64_10
.LBB64_17:
	s_or_b32 exec_lo, exec_lo, s15
.LBB64_18:
	s_bfe_u32 s0, s14, 0x10008
	s_delay_alu instid0(SALU_CYCLE_1)
	s_cmp_eq_u32 s0, 0
	s_cbranch_scc1 .LBB64_31
; %bb.19:
	s_wait_kmcnt 0x0
	s_lshl_b64 s[0:1], s[38:39], 3
	v_mov_b32_e32 v1, 0
	s_add_nc_u64 s[0:1], s[10:11], s[0:1]
	s_load_b128 s[4:7], s[0:1], 0x0
	s_wait_xcnt 0x0
	s_mov_b32 s1, 0
	s_mov_b32 s0, s47
	s_delay_alu instid0(SALU_CYCLE_1) | instskip(SKIP_1) | instid1(VALU_DEP_1)
	v_sub_nc_u64_e64 v[2:3], v[0:1], s[0:1]
	s_wait_kmcnt 0x0
	v_add_nc_u64_e32 v[2:3], s[4:5], v[2:3]
	s_sub_nc_u64 s[2:3], s[6:7], s[0:1]
	s_mov_b32 s4, exec_lo
	s_delay_alu instid0(VALU_DEP_1)
	v_cmpx_gt_i64_e64 s[2:3], v[2:3]
	s_cbranch_execz .LBB64_30
; %bb.20:
	s_mov_b32 s5, s1
	s_branch .LBB64_22
.LBB64_21:                              ;   in Loop: Header=BB64_22 Depth=1
	s_or_b32 exec_lo, exec_lo, s6
	v_add_nc_u64_e32 v[2:3], 0x400, v[2:3]
	s_delay_alu instid0(VALU_DEP_1) | instskip(SKIP_1) | instid1(SALU_CYCLE_1)
	v_cmp_le_i64_e32 vcc_lo, s[2:3], v[2:3]
	s_or_b32 s5, vcc_lo, s5
	s_and_not1_b32 exec_lo, exec_lo, s5
	s_cbranch_execz .LBB64_30
.LBB64_22:                              ; =>This Loop Header: Depth=1
                                        ;     Child Loop BB64_25 Depth 2
	v_lshl_add_u64 v[4:5], v[2:3], 3, s[48:49]
	s_mov_b32 s6, 0
                                        ; implicit-def: $sgpr7
	global_load_b64 v[4:5], v[4:5], off
	s_wait_loadcnt 0x0
	v_sub_nc_u64_e64 v[4:5], v[4:5], s[0:1]
	s_delay_alu instid0(VALU_DEP_1) | instskip(NEXT) | instid1(VALU_DEP_1)
	v_mul_lo_u32 v1, 0x89, v4
	v_and_b32_e32 v6, 0x3fff, v1
	s_branch .LBB64_25
.LBB64_23:                              ;   in Loop: Header=BB64_25 Depth=2
	s_or_b32 exec_lo, exec_lo, s9
	s_delay_alu instid0(SALU_CYCLE_1) | instskip(SKIP_1) | instid1(SALU_CYCLE_1)
	s_and_not1_b32 s7, s7, exec_lo
	s_and_b32 s9, s10, exec_lo
	s_or_b32 s7, s7, s9
.LBB64_24:                              ;   in Loop: Header=BB64_25 Depth=2
	s_or_b32 exec_lo, exec_lo, s8
	s_xor_b32 s8, s7, -1
	s_delay_alu instid0(SALU_CYCLE_1) | instskip(NEXT) | instid1(SALU_CYCLE_1)
	s_and_b32 s8, exec_lo, s8
	s_or_b32 s6, s8, s6
	s_delay_alu instid0(SALU_CYCLE_1)
	s_and_not1_b32 exec_lo, exec_lo, s6
	s_cbranch_execz .LBB64_21
.LBB64_25:                              ;   Parent Loop BB64_22 Depth=1
                                        ; =>  This Inner Loop Header: Depth=2
	s_delay_alu instid0(VALU_DEP_1)
	v_lshl_add_u32 v1, v6, 3, 0
	s_and_not1_b32 s7, s7, exec_lo
	s_mov_b32 s8, exec_lo
	ds_load_b64 v[8:9], v1
	s_wait_dscnt 0x0
	v_cmpx_ne_u64_e64 v[8:9], v[4:5]
	s_cbranch_execz .LBB64_24
; %bb.26:                               ;   in Loop: Header=BB64_25 Depth=2
	s_mov_b32 s9, exec_lo
	v_cmpx_ne_u64_e64 s[36:37], v[8:9]
	s_xor_b32 s9, exec_lo, s9
; %bb.27:                               ;   in Loop: Header=BB64_25 Depth=2
	v_add_nc_u32_e32 v1, 1, v6
	s_delay_alu instid0(VALU_DEP_1)
	v_and_b32_e32 v6, 0x3fff, v1
                                        ; implicit-def: $vgpr1
; %bb.28:                               ;   in Loop: Header=BB64_25 Depth=2
	s_or_saveexec_b32 s9, s9
	s_mov_b32 s10, -1
	s_xor_b32 exec_lo, exec_lo, s9
	s_cbranch_execz .LBB64_23
; %bb.29:                               ;   in Loop: Header=BB64_25 Depth=2
	v_mov_b64_e32 v[8:9], s[36:37]
	ds_cmpstore_rtn_b64 v[8:9], v1, v[4:5], v[8:9]
	s_wait_dscnt 0x0
	v_cmp_ne_u64_e32 vcc_lo, s[36:37], v[8:9]
	s_or_not1_b32 s10, vcc_lo, exec_lo
	s_branch .LBB64_23
.LBB64_30:
	s_or_b32 exec_lo, exec_lo, s4
.LBB64_31:
	v_mbcnt_lo_u32_b32 v1, -1, 0
	v_lshrrev_b32_e32 v2, 2, v0
	v_mov_b64_e32 v[6:7], 0
	v_mov_b32_e32 v3, 0
	v_cmp_lt_u32_e64 s0, 31, v0
	v_xor_b32_e32 v1, 31, v1
	v_and_b32_e32 v2, 0xf8, v2
	v_cmp_lt_u32_e64 s1, 63, v0
	v_cmp_lt_u32_e64 s2, 0x5f, v0
	;; [unrolled: 1-line block ×3, first 2 shown]
	v_lshrrev_b32_e64 v4, v1, -1
	v_add3_u32 v1, 0x20000, 0, v2
	v_cmp_lt_u32_e64 s4, 0x9f, v0
	v_cmp_lt_u32_e64 s5, 0xbf, v0
	;; [unrolled: 1-line block ×27, first 2 shown]
	s_mov_b32 s33, 0
	s_add_co_i32 s40, 0, 0x20000
	s_add_co_i32 s41, 0, 0x20008
	;; [unrolled: 1-line block ×4, first 2 shown]
	s_wait_kmcnt 0x0
	s_add_co_i32 s44, 0, 0x20020
	s_add_co_i32 s45, 0, 0x20028
	;; [unrolled: 1-line block ×28, first 2 shown]
	s_barrier_signal -1
	s_barrier_wait -1
	v_cmp_eq_u32_e32 vcc_lo, 0x3ff, v0
	s_branch .LBB64_33
.LBB64_32:                              ;   in Loop: Header=BB64_33 Depth=1
	s_or_b32 exec_lo, exec_lo, s31
	v_dual_mov_b32 v2, s74 :: v_dual_add_nc_u32 v13, 0x2000, v13
	s_wait_dscnt 0x0
	s_barrier_signal -1
	s_barrier_wait -1
	ds_load_b64 v[8:9], v2
	v_add_nc_u32_e32 v16, 0x400, v16
	s_delay_alu instid0(VALU_DEP_1)
	v_cmp_lt_u32_e64 s31, 0x3bff, v16
	s_or_b32 s33, s31, s33
	s_wait_dscnt 0x0
	v_add_nc_u64_e32 v[6:7], v[8:9], v[6:7]
	s_and_not1_b32 exec_lo, exec_lo, s33
	s_cbranch_execz .LBB64_99
.LBB64_33:                              ; =>This Inner Loop Header: Depth=1
	ds_load_b64 v[8:9], v13
	s_wait_dscnt 0x0
	s_barrier_signal -1
	s_barrier_wait -1
	v_cmp_gt_i64_e64 s31, s[36:37], v[8:9]
	s_bcnt1_i32_b32 s75, s31
	s_delay_alu instid0(SALU_CYCLE_1) | instskip(NEXT) | instid1(VALU_DEP_1)
	v_dual_mov_b32 v2, s75 :: v_dual_bitop2_b32 v5, s31, v4 bitop3:0x40
	v_bcnt_u32_b32 v10, v5, 0
	ds_store_b64 v1, v[2:3]
	s_wait_dscnt 0x0
	s_barrier_signal -1
	s_barrier_wait -1
	s_and_saveexec_b32 s75, s0
	s_cbranch_execnz .LBB64_66
; %bb.34:                               ;   in Loop: Header=BB64_33 Depth=1
	s_or_b32 exec_lo, exec_lo, s75
	s_and_saveexec_b32 s75, s1
	s_cbranch_execnz .LBB64_67
.LBB64_35:                              ;   in Loop: Header=BB64_33 Depth=1
	s_or_b32 exec_lo, exec_lo, s75
	s_and_saveexec_b32 s75, s2
	s_cbranch_execnz .LBB64_68
.LBB64_36:                              ;   in Loop: Header=BB64_33 Depth=1
	s_or_b32 exec_lo, exec_lo, s75
	s_and_saveexec_b32 s75, s3
	s_cbranch_execnz .LBB64_69
.LBB64_37:                              ;   in Loop: Header=BB64_33 Depth=1
	s_or_b32 exec_lo, exec_lo, s75
	s_and_saveexec_b32 s75, s4
	s_cbranch_execnz .LBB64_70
.LBB64_38:                              ;   in Loop: Header=BB64_33 Depth=1
	s_or_b32 exec_lo, exec_lo, s75
	s_and_saveexec_b32 s75, s5
	s_cbranch_execnz .LBB64_71
.LBB64_39:                              ;   in Loop: Header=BB64_33 Depth=1
	s_or_b32 exec_lo, exec_lo, s75
	s_and_saveexec_b32 s75, s6
	s_cbranch_execnz .LBB64_72
.LBB64_40:                              ;   in Loop: Header=BB64_33 Depth=1
	s_or_b32 exec_lo, exec_lo, s75
	s_and_saveexec_b32 s75, s7
	s_cbranch_execnz .LBB64_73
.LBB64_41:                              ;   in Loop: Header=BB64_33 Depth=1
	s_or_b32 exec_lo, exec_lo, s75
	s_and_saveexec_b32 s75, s8
	s_cbranch_execnz .LBB64_74
.LBB64_42:                              ;   in Loop: Header=BB64_33 Depth=1
	s_or_b32 exec_lo, exec_lo, s75
	s_and_saveexec_b32 s75, s9
	s_cbranch_execnz .LBB64_75
.LBB64_43:                              ;   in Loop: Header=BB64_33 Depth=1
	s_or_b32 exec_lo, exec_lo, s75
	s_and_saveexec_b32 s75, s10
	s_cbranch_execnz .LBB64_76
.LBB64_44:                              ;   in Loop: Header=BB64_33 Depth=1
	s_or_b32 exec_lo, exec_lo, s75
	s_and_saveexec_b32 s75, s11
	s_cbranch_execnz .LBB64_77
.LBB64_45:                              ;   in Loop: Header=BB64_33 Depth=1
	s_or_b32 exec_lo, exec_lo, s75
	s_and_saveexec_b32 s75, s12
	s_cbranch_execnz .LBB64_78
.LBB64_46:                              ;   in Loop: Header=BB64_33 Depth=1
	s_or_b32 exec_lo, exec_lo, s75
	s_and_saveexec_b32 s75, s13
	s_cbranch_execnz .LBB64_79
.LBB64_47:                              ;   in Loop: Header=BB64_33 Depth=1
	s_or_b32 exec_lo, exec_lo, s75
	s_and_saveexec_b32 s75, s14
	s_cbranch_execnz .LBB64_80
.LBB64_48:                              ;   in Loop: Header=BB64_33 Depth=1
	s_or_b32 exec_lo, exec_lo, s75
	s_and_saveexec_b32 s75, s15
	s_cbranch_execnz .LBB64_81
.LBB64_49:                              ;   in Loop: Header=BB64_33 Depth=1
	s_or_b32 exec_lo, exec_lo, s75
	s_and_saveexec_b32 s75, s16
	s_cbranch_execnz .LBB64_82
.LBB64_50:                              ;   in Loop: Header=BB64_33 Depth=1
	s_or_b32 exec_lo, exec_lo, s75
	s_and_saveexec_b32 s75, s17
	s_cbranch_execnz .LBB64_83
.LBB64_51:                              ;   in Loop: Header=BB64_33 Depth=1
	s_or_b32 exec_lo, exec_lo, s75
	s_and_saveexec_b32 s75, s18
	s_cbranch_execnz .LBB64_84
.LBB64_52:                              ;   in Loop: Header=BB64_33 Depth=1
	s_or_b32 exec_lo, exec_lo, s75
	s_and_saveexec_b32 s75, s19
	s_cbranch_execnz .LBB64_85
.LBB64_53:                              ;   in Loop: Header=BB64_33 Depth=1
	s_or_b32 exec_lo, exec_lo, s75
	s_and_saveexec_b32 s75, s20
	s_cbranch_execnz .LBB64_86
.LBB64_54:                              ;   in Loop: Header=BB64_33 Depth=1
	s_or_b32 exec_lo, exec_lo, s75
	s_and_saveexec_b32 s75, s21
	s_cbranch_execnz .LBB64_87
.LBB64_55:                              ;   in Loop: Header=BB64_33 Depth=1
	s_or_b32 exec_lo, exec_lo, s75
	s_and_saveexec_b32 s75, s22
	s_cbranch_execnz .LBB64_88
.LBB64_56:                              ;   in Loop: Header=BB64_33 Depth=1
	s_or_b32 exec_lo, exec_lo, s75
	s_and_saveexec_b32 s75, s23
	s_cbranch_execnz .LBB64_89
.LBB64_57:                              ;   in Loop: Header=BB64_33 Depth=1
	s_or_b32 exec_lo, exec_lo, s75
	s_and_saveexec_b32 s75, s24
	s_cbranch_execnz .LBB64_90
.LBB64_58:                              ;   in Loop: Header=BB64_33 Depth=1
	s_or_b32 exec_lo, exec_lo, s75
	s_and_saveexec_b32 s75, s25
	s_cbranch_execnz .LBB64_91
.LBB64_59:                              ;   in Loop: Header=BB64_33 Depth=1
	s_or_b32 exec_lo, exec_lo, s75
	s_and_saveexec_b32 s75, s26
	s_cbranch_execnz .LBB64_92
.LBB64_60:                              ;   in Loop: Header=BB64_33 Depth=1
	s_or_b32 exec_lo, exec_lo, s75
	s_and_saveexec_b32 s75, s27
	s_cbranch_execnz .LBB64_93
.LBB64_61:                              ;   in Loop: Header=BB64_33 Depth=1
	s_or_b32 exec_lo, exec_lo, s75
	s_and_saveexec_b32 s75, s28
	s_cbranch_execnz .LBB64_94
.LBB64_62:                              ;   in Loop: Header=BB64_33 Depth=1
	s_or_b32 exec_lo, exec_lo, s75
	s_and_saveexec_b32 s75, s29
	s_cbranch_execnz .LBB64_95
.LBB64_63:                              ;   in Loop: Header=BB64_33 Depth=1
	s_or_b32 exec_lo, exec_lo, s75
	s_and_saveexec_b32 s75, s30
	s_cbranch_execnz .LBB64_96
.LBB64_64:                              ;   in Loop: Header=BB64_33 Depth=1
	s_or_b32 exec_lo, exec_lo, s75
	v_ashrrev_i32_e32 v11, 31, v10
	s_and_saveexec_b32 s75, s31
	s_cbranch_execnz .LBB64_97
.LBB64_65:                              ;   in Loop: Header=BB64_33 Depth=1
	s_or_b32 exec_lo, exec_lo, s75
	s_and_saveexec_b32 s31, vcc_lo
	s_cbranch_execz .LBB64_32
	s_branch .LBB64_98
.LBB64_66:                              ;   in Loop: Header=BB64_33 Depth=1
	v_mov_b32_e32 v2, s40
	ds_load_b32 v2, v2
	s_wait_dscnt 0x0
	v_add_nc_u32_e32 v10, v2, v10
	s_or_b32 exec_lo, exec_lo, s75
	s_and_saveexec_b32 s75, s1
	s_cbranch_execz .LBB64_35
.LBB64_67:                              ;   in Loop: Header=BB64_33 Depth=1
	v_mov_b32_e32 v2, s41
	ds_load_b32 v2, v2
	s_wait_dscnt 0x0
	v_add_nc_u32_e32 v10, v10, v2
	s_or_b32 exec_lo, exec_lo, s75
	s_and_saveexec_b32 s75, s2
	s_cbranch_execz .LBB64_36
.LBB64_68:                              ;   in Loop: Header=BB64_33 Depth=1
	v_mov_b32_e32 v2, s42
	ds_load_b32 v2, v2
	s_wait_dscnt 0x0
	v_add_nc_u32_e32 v10, v10, v2
	s_or_b32 exec_lo, exec_lo, s75
	s_and_saveexec_b32 s75, s3
	s_cbranch_execz .LBB64_37
.LBB64_69:                              ;   in Loop: Header=BB64_33 Depth=1
	v_mov_b32_e32 v2, s43
	ds_load_b32 v2, v2
	s_wait_dscnt 0x0
	v_add_nc_u32_e32 v10, v10, v2
	s_or_b32 exec_lo, exec_lo, s75
	s_and_saveexec_b32 s75, s4
	s_cbranch_execz .LBB64_38
.LBB64_70:                              ;   in Loop: Header=BB64_33 Depth=1
	v_mov_b32_e32 v2, s44
	ds_load_b32 v2, v2
	s_wait_dscnt 0x0
	v_add_nc_u32_e32 v10, v10, v2
	s_or_b32 exec_lo, exec_lo, s75
	s_and_saveexec_b32 s75, s5
	s_cbranch_execz .LBB64_39
.LBB64_71:                              ;   in Loop: Header=BB64_33 Depth=1
	v_mov_b32_e32 v2, s45
	ds_load_b32 v2, v2
	s_wait_dscnt 0x0
	v_add_nc_u32_e32 v10, v10, v2
	s_or_b32 exec_lo, exec_lo, s75
	s_and_saveexec_b32 s75, s6
	s_cbranch_execz .LBB64_40
.LBB64_72:                              ;   in Loop: Header=BB64_33 Depth=1
	v_mov_b32_e32 v2, s47
	ds_load_b32 v2, v2
	s_wait_dscnt 0x0
	v_add_nc_u32_e32 v10, v10, v2
	s_or_b32 exec_lo, exec_lo, s75
	s_and_saveexec_b32 s75, s7
	s_cbranch_execz .LBB64_41
.LBB64_73:                              ;   in Loop: Header=BB64_33 Depth=1
	v_mov_b32_e32 v2, s48
	ds_load_b32 v2, v2
	s_wait_dscnt 0x0
	v_add_nc_u32_e32 v10, v10, v2
	s_or_b32 exec_lo, exec_lo, s75
	s_and_saveexec_b32 s75, s8
	s_cbranch_execz .LBB64_42
.LBB64_74:                              ;   in Loop: Header=BB64_33 Depth=1
	v_mov_b32_e32 v2, s49
	ds_load_b32 v2, v2
	s_wait_dscnt 0x0
	v_add_nc_u32_e32 v10, v10, v2
	s_or_b32 exec_lo, exec_lo, s75
	s_and_saveexec_b32 s75, s9
	s_cbranch_execz .LBB64_43
.LBB64_75:                              ;   in Loop: Header=BB64_33 Depth=1
	v_mov_b32_e32 v2, s52
	ds_load_b32 v2, v2
	s_wait_dscnt 0x0
	v_add_nc_u32_e32 v10, v10, v2
	s_or_b32 exec_lo, exec_lo, s75
	s_and_saveexec_b32 s75, s10
	s_cbranch_execz .LBB64_44
.LBB64_76:                              ;   in Loop: Header=BB64_33 Depth=1
	v_mov_b32_e32 v2, s53
	ds_load_b32 v2, v2
	s_wait_dscnt 0x0
	v_add_nc_u32_e32 v10, v10, v2
	s_or_b32 exec_lo, exec_lo, s75
	s_and_saveexec_b32 s75, s11
	s_cbranch_execz .LBB64_45
.LBB64_77:                              ;   in Loop: Header=BB64_33 Depth=1
	v_mov_b32_e32 v2, s54
	ds_load_b32 v2, v2
	s_wait_dscnt 0x0
	v_add_nc_u32_e32 v10, v10, v2
	s_or_b32 exec_lo, exec_lo, s75
	s_and_saveexec_b32 s75, s12
	s_cbranch_execz .LBB64_46
.LBB64_78:                              ;   in Loop: Header=BB64_33 Depth=1
	v_mov_b32_e32 v2, s55
	ds_load_b32 v2, v2
	s_wait_dscnt 0x0
	v_add_nc_u32_e32 v10, v10, v2
	s_or_b32 exec_lo, exec_lo, s75
	s_and_saveexec_b32 s75, s13
	s_cbranch_execz .LBB64_47
.LBB64_79:                              ;   in Loop: Header=BB64_33 Depth=1
	v_mov_b32_e32 v2, s56
	ds_load_b32 v2, v2
	s_wait_dscnt 0x0
	v_add_nc_u32_e32 v10, v10, v2
	s_or_b32 exec_lo, exec_lo, s75
	s_and_saveexec_b32 s75, s14
	s_cbranch_execz .LBB64_48
.LBB64_80:                              ;   in Loop: Header=BB64_33 Depth=1
	v_mov_b32_e32 v2, s57
	ds_load_b32 v2, v2
	s_wait_dscnt 0x0
	v_add_nc_u32_e32 v10, v10, v2
	s_or_b32 exec_lo, exec_lo, s75
	s_and_saveexec_b32 s75, s15
	s_cbranch_execz .LBB64_49
.LBB64_81:                              ;   in Loop: Header=BB64_33 Depth=1
	v_mov_b32_e32 v2, s58
	ds_load_b32 v2, v2
	s_wait_dscnt 0x0
	v_add_nc_u32_e32 v10, v10, v2
	s_or_b32 exec_lo, exec_lo, s75
	s_and_saveexec_b32 s75, s16
	s_cbranch_execz .LBB64_50
.LBB64_82:                              ;   in Loop: Header=BB64_33 Depth=1
	v_mov_b32_e32 v2, s59
	ds_load_b32 v2, v2
	s_wait_dscnt 0x0
	v_add_nc_u32_e32 v10, v10, v2
	s_or_b32 exec_lo, exec_lo, s75
	s_and_saveexec_b32 s75, s17
	s_cbranch_execz .LBB64_51
.LBB64_83:                              ;   in Loop: Header=BB64_33 Depth=1
	v_mov_b32_e32 v2, s60
	ds_load_b32 v2, v2
	s_wait_dscnt 0x0
	v_add_nc_u32_e32 v10, v10, v2
	s_or_b32 exec_lo, exec_lo, s75
	s_and_saveexec_b32 s75, s18
	s_cbranch_execz .LBB64_52
.LBB64_84:                              ;   in Loop: Header=BB64_33 Depth=1
	v_mov_b32_e32 v2, s61
	ds_load_b32 v2, v2
	s_wait_dscnt 0x0
	v_add_nc_u32_e32 v10, v10, v2
	s_or_b32 exec_lo, exec_lo, s75
	s_and_saveexec_b32 s75, s19
	s_cbranch_execz .LBB64_53
.LBB64_85:                              ;   in Loop: Header=BB64_33 Depth=1
	v_mov_b32_e32 v2, s62
	ds_load_b32 v2, v2
	s_wait_dscnt 0x0
	v_add_nc_u32_e32 v10, v10, v2
	s_or_b32 exec_lo, exec_lo, s75
	s_and_saveexec_b32 s75, s20
	s_cbranch_execz .LBB64_54
.LBB64_86:                              ;   in Loop: Header=BB64_33 Depth=1
	v_mov_b32_e32 v2, s63
	ds_load_b32 v2, v2
	s_wait_dscnt 0x0
	v_add_nc_u32_e32 v10, v10, v2
	s_or_b32 exec_lo, exec_lo, s75
	s_and_saveexec_b32 s75, s21
	s_cbranch_execz .LBB64_55
.LBB64_87:                              ;   in Loop: Header=BB64_33 Depth=1
	v_mov_b32_e32 v2, s64
	ds_load_b32 v2, v2
	s_wait_dscnt 0x0
	v_add_nc_u32_e32 v10, v10, v2
	s_or_b32 exec_lo, exec_lo, s75
	s_and_saveexec_b32 s75, s22
	s_cbranch_execz .LBB64_56
.LBB64_88:                              ;   in Loop: Header=BB64_33 Depth=1
	v_mov_b32_e32 v2, s65
	ds_load_b32 v2, v2
	s_wait_dscnt 0x0
	v_add_nc_u32_e32 v10, v10, v2
	s_or_b32 exec_lo, exec_lo, s75
	s_and_saveexec_b32 s75, s23
	s_cbranch_execz .LBB64_57
.LBB64_89:                              ;   in Loop: Header=BB64_33 Depth=1
	v_mov_b32_e32 v2, s66
	ds_load_b32 v2, v2
	s_wait_dscnt 0x0
	v_add_nc_u32_e32 v10, v10, v2
	s_or_b32 exec_lo, exec_lo, s75
	s_and_saveexec_b32 s75, s24
	s_cbranch_execz .LBB64_58
.LBB64_90:                              ;   in Loop: Header=BB64_33 Depth=1
	v_mov_b32_e32 v2, s67
	ds_load_b32 v2, v2
	s_wait_dscnt 0x0
	v_add_nc_u32_e32 v10, v10, v2
	s_or_b32 exec_lo, exec_lo, s75
	s_and_saveexec_b32 s75, s25
	s_cbranch_execz .LBB64_59
.LBB64_91:                              ;   in Loop: Header=BB64_33 Depth=1
	v_mov_b32_e32 v2, s68
	ds_load_b32 v2, v2
	s_wait_dscnt 0x0
	v_add_nc_u32_e32 v10, v10, v2
	s_or_b32 exec_lo, exec_lo, s75
	s_and_saveexec_b32 s75, s26
	s_cbranch_execz .LBB64_60
.LBB64_92:                              ;   in Loop: Header=BB64_33 Depth=1
	v_mov_b32_e32 v2, s69
	ds_load_b32 v2, v2
	s_wait_dscnt 0x0
	v_add_nc_u32_e32 v10, v10, v2
	s_or_b32 exec_lo, exec_lo, s75
	s_and_saveexec_b32 s75, s27
	s_cbranch_execz .LBB64_61
.LBB64_93:                              ;   in Loop: Header=BB64_33 Depth=1
	v_mov_b32_e32 v2, s70
	ds_load_b32 v2, v2
	s_wait_dscnt 0x0
	v_add_nc_u32_e32 v10, v10, v2
	s_or_b32 exec_lo, exec_lo, s75
	s_and_saveexec_b32 s75, s28
	s_cbranch_execz .LBB64_62
.LBB64_94:                              ;   in Loop: Header=BB64_33 Depth=1
	v_mov_b32_e32 v2, s71
	ds_load_b32 v2, v2
	s_wait_dscnt 0x0
	v_add_nc_u32_e32 v10, v10, v2
	s_or_b32 exec_lo, exec_lo, s75
	s_and_saveexec_b32 s75, s29
	s_cbranch_execz .LBB64_63
.LBB64_95:                              ;   in Loop: Header=BB64_33 Depth=1
	v_mov_b32_e32 v2, s72
	ds_load_b32 v2, v2
	s_wait_dscnt 0x0
	v_add_nc_u32_e32 v10, v10, v2
	s_or_b32 exec_lo, exec_lo, s75
	s_and_saveexec_b32 s75, s30
	s_cbranch_execz .LBB64_64
.LBB64_96:                              ;   in Loop: Header=BB64_33 Depth=1
	v_mov_b32_e32 v2, s73
	ds_load_b32 v2, v2
	s_wait_dscnt 0x0
	v_add_nc_u32_e32 v10, v10, v2
	s_or_b32 exec_lo, exec_lo, s75
	s_delay_alu instid0(VALU_DEP_1)
	v_ashrrev_i32_e32 v11, 31, v10
	s_and_saveexec_b32 s75, s31
	s_cbranch_execz .LBB64_65
.LBB64_97:                              ;   in Loop: Header=BB64_33 Depth=1
	v_lshlrev_b32_e32 v2, 3, v6
	v_lshlrev_b32_e32 v5, 3, v10
	s_delay_alu instid0(VALU_DEP_2) | instskip(NEXT) | instid1(VALU_DEP_1)
	v_add_nc_u32_e32 v2, 0, v2
	v_add3_u32 v2, v2, v5, -8
	ds_store_b64 v2, v[8:9]
	s_or_b32 exec_lo, exec_lo, s75
	s_and_saveexec_b32 s31, vcc_lo
	s_cbranch_execz .LBB64_32
.LBB64_98:                              ;   in Loop: Header=BB64_33 Depth=1
	v_mov_b32_e32 v2, s74
	ds_store_b64 v2, v[10:11]
	s_branch .LBB64_32
.LBB64_99:
	s_or_b32 exec_lo, exec_lo, s33
	s_lshl_b64 s[0:1], s[38:39], 3
	v_mov_b32_e32 v1, 0
	s_add_nc_u64 s[4:5], s[50:51], s[0:1]
	s_mov_b32 s6, exec_lo
	s_load_b128 s[0:3], s[4:5], 0x0
	s_wait_kmcnt 0x0
	s_sub_nc_u64 s[4:5], s[2:3], s[0:1]
	s_delay_alu instid0(SALU_CYCLE_1)
	v_cmpx_gt_i64_e64 s[4:5], v[0:1]
	s_cbranch_execz .LBB64_109
; %bb.100:
	s_sub_nc_u64 s[8:9], s[0:1], s[2:3]
	s_and_b64 s[6:7], s[4:5], 7
	v_cmp_lt_u64_e64 s10, s[8:9], -7
	s_and_b64 s[2:3], s[4:5], -8
	s_mov_b32 s47, 0
	s_cmp_lg_u64 s[6:7], 0
	s_sub_nc_u64 s[0:1], s[0:1], s[46:47]
	s_cselect_b32 s11, -1, 0
	s_mov_b32 s12, s47
	s_branch .LBB64_102
.LBB64_101:                             ;   in Loop: Header=BB64_102 Depth=1
	v_add_nc_u64_e32 v[0:1], 0x400, v[0:1]
	s_wait_dscnt 0x0
	v_add_nc_u64_e32 v[2:3], s[46:47], v[2:3]
	s_delay_alu instid0(VALU_DEP_3) | instskip(NEXT) | instid1(VALU_DEP_3)
	v_lshl_add_u64 v[4:5], v[4:5], 3, s[34:35]
	v_cmp_le_i64_e32 vcc_lo, s[4:5], v[0:1]
	global_store_b64 v[4:5], v[2:3], off
	s_or_b32 s12, vcc_lo, s12
	s_wait_xcnt 0x0
	s_and_not1_b32 exec_lo, exec_lo, s12
	s_cbranch_execz .LBB64_109
.LBB64_102:                             ; =>This Loop Header: Depth=1
                                        ;     Child Loop BB64_104 Depth 2
                                        ;     Child Loop BB64_108 Depth 2
	v_lshl_add_u32 v2, v0, 3, 0
	v_mov_b64_e32 v[4:5], s[0:1]
	s_and_not1_b32 vcc_lo, exec_lo, s10
	s_mov_b64 s[8:9], 0
	ds_load_b64 v[2:3], v2
	s_cbranch_vccnz .LBB64_106
; %bb.103:                              ;   in Loop: Header=BB64_102 Depth=1
	v_mov_b64_e32 v[4:5], s[0:1]
	s_mov_b32 s13, 0
.LBB64_104:                             ;   Parent Loop BB64_102 Depth=1
                                        ; =>  This Inner Loop Header: Depth=2
	s_delay_alu instid0(SALU_CYCLE_1)
	v_dual_mov_b32 v18, s13 :: v_dual_mov_b32 v15, s47
	v_mov_b32_e32 v17, s47
	s_add_nc_u64 s[8:9], s[8:9], 8
	s_add_co_i32 s13, s13, 64
	ds_load_2addr_b64 v[6:9], v18 offset1:1
	ds_load_2addr_b64 v[10:13], v18 offset0:2 offset1:3
	s_cmp_eq_u64 s[2:3], s[8:9]
	s_wait_dscnt 0x1
	v_cmp_gt_i64_e32 vcc_lo, v[2:3], v[6:7]
	v_cndmask_b32_e64 v14, 0, 1, vcc_lo
	v_cmp_gt_i64_e32 vcc_lo, v[2:3], v[8:9]
	s_delay_alu instid0(VALU_DEP_2) | instskip(SKIP_4) | instid1(VALU_DEP_2)
	v_add_nc_u64_e32 v[8:9], v[4:5], v[14:15]
	ds_load_2addr_b64 v[4:7], v18 offset0:4 offset1:5
	v_cndmask_b32_e64 v16, 0, 1, vcc_lo
	s_wait_dscnt 0x1
	v_cmp_gt_i64_e32 vcc_lo, v[2:3], v[10:11]
	v_add_nc_u64_e32 v[8:9], v[8:9], v[16:17]
	v_cndmask_b32_e64 v14, 0, 1, vcc_lo
	v_cmp_gt_i64_e32 vcc_lo, v[2:3], v[12:13]
	s_delay_alu instid0(VALU_DEP_2)
	v_add_nc_u64_e32 v[12:13], v[8:9], v[14:15]
	ds_load_2addr_b64 v[8:11], v18 offset0:6 offset1:7
	v_cndmask_b32_e64 v16, 0, 1, vcc_lo
	s_wait_dscnt 0x1
	v_cmp_gt_i64_e32 vcc_lo, v[2:3], v[4:5]
	v_mov_b32_e32 v5, s47
	s_delay_alu instid0(VALU_DEP_3) | instskip(SKIP_3) | instid1(VALU_DEP_3)
	v_add_nc_u64_e32 v[12:13], v[12:13], v[16:17]
	v_cndmask_b32_e64 v14, 0, 1, vcc_lo
	v_cmp_gt_i64_e32 vcc_lo, v[2:3], v[6:7]
	v_mov_b32_e32 v7, s47
	v_add_nc_u64_e32 v[12:13], v[12:13], v[14:15]
	v_cndmask_b32_e64 v4, 0, 1, vcc_lo
	s_wait_dscnt 0x0
	v_cmp_gt_i64_e32 vcc_lo, v[2:3], v[8:9]
	v_mov_b32_e32 v9, s47
	s_delay_alu instid0(VALU_DEP_3) | instskip(SKIP_2) | instid1(VALU_DEP_2)
	v_add_nc_u64_e32 v[4:5], v[12:13], v[4:5]
	v_cndmask_b32_e64 v6, 0, 1, vcc_lo
	v_cmp_gt_i64_e32 vcc_lo, v[2:3], v[10:11]
	v_add_nc_u64_e32 v[4:5], v[4:5], v[6:7]
	v_cndmask_b32_e64 v8, 0, 1, vcc_lo
	s_delay_alu instid0(VALU_DEP_1)
	v_add_nc_u64_e32 v[4:5], v[4:5], v[8:9]
	s_cbranch_scc0 .LBB64_104
; %bb.105:                              ;   in Loop: Header=BB64_102 Depth=1
	s_mov_b64 s[8:9], s[2:3]
.LBB64_106:                             ;   in Loop: Header=BB64_102 Depth=1
	s_and_not1_b32 vcc_lo, exec_lo, s11
	s_cbranch_vccnz .LBB64_101
; %bb.107:                              ;   in Loop: Header=BB64_102 Depth=1
	s_lshl_b32 s8, s8, 3
	s_delay_alu instid0(SALU_CYCLE_1)
	s_add_co_i32 s13, s8, 0
	s_mov_b64 s[8:9], s[6:7]
.LBB64_108:                             ;   Parent Loop BB64_102 Depth=1
                                        ; =>  This Inner Loop Header: Depth=2
	v_dual_mov_b32 v6, s13 :: v_dual_mov_b32 v9, s47
	s_add_nc_u64 s[8:9], s[8:9], -1
	s_add_co_i32 s13, s13, 8
	s_cmp_lg_u64 s[8:9], 0
	ds_load_b64 v[6:7], v6
	s_wait_dscnt 0x0
	v_cmp_gt_i64_e32 vcc_lo, v[2:3], v[6:7]
	v_cndmask_b32_e64 v8, 0, 1, vcc_lo
	s_delay_alu instid0(VALU_DEP_1)
	v_add_nc_u64_e32 v[4:5], v[4:5], v[8:9]
	s_cbranch_scc1 .LBB64_108
	s_branch .LBB64_101
.LBB64_109:
	s_endpgm
	.section	.rodata,"a",@progbits
	.p2align	6, 0x0
	.amdhsa_kernel _ZN9rocsparseL35csrgemm_symbolic_fill_block_per_rowILj1024ELj64ELj16384ELj137ELj32EllEEvT5_PKS1_S3_PKT4_S3_S6_S3_S6_S3_S6_PS1_21rocsparse_index_base_S8_S8_S8_bb
		.amdhsa_group_segment_fixed_size 0
		.amdhsa_private_segment_fixed_size 0
		.amdhsa_kernarg_size 108
		.amdhsa_user_sgpr_count 2
		.amdhsa_user_sgpr_dispatch_ptr 0
		.amdhsa_user_sgpr_queue_ptr 0
		.amdhsa_user_sgpr_kernarg_segment_ptr 1
		.amdhsa_user_sgpr_dispatch_id 0
		.amdhsa_user_sgpr_kernarg_preload_length 0
		.amdhsa_user_sgpr_kernarg_preload_offset 0
		.amdhsa_user_sgpr_private_segment_size 0
		.amdhsa_wavefront_size32 1
		.amdhsa_uses_dynamic_stack 0
		.amdhsa_enable_private_segment 0
		.amdhsa_system_sgpr_workgroup_id_x 1
		.amdhsa_system_sgpr_workgroup_id_y 0
		.amdhsa_system_sgpr_workgroup_id_z 0
		.amdhsa_system_sgpr_workgroup_info 0
		.amdhsa_system_vgpr_workitem_id 0
		.amdhsa_next_free_vgpr 19
		.amdhsa_next_free_sgpr 76
		.amdhsa_named_barrier_count 0
		.amdhsa_reserve_vcc 1
		.amdhsa_float_round_mode_32 0
		.amdhsa_float_round_mode_16_64 0
		.amdhsa_float_denorm_mode_32 3
		.amdhsa_float_denorm_mode_16_64 3
		.amdhsa_fp16_overflow 0
		.amdhsa_memory_ordered 1
		.amdhsa_forward_progress 1
		.amdhsa_inst_pref_size 31
		.amdhsa_round_robin_scheduling 0
		.amdhsa_exception_fp_ieee_invalid_op 0
		.amdhsa_exception_fp_denorm_src 0
		.amdhsa_exception_fp_ieee_div_zero 0
		.amdhsa_exception_fp_ieee_overflow 0
		.amdhsa_exception_fp_ieee_underflow 0
		.amdhsa_exception_fp_ieee_inexact 0
		.amdhsa_exception_int_div_zero 0
	.end_amdhsa_kernel
	.section	.text._ZN9rocsparseL35csrgemm_symbolic_fill_block_per_rowILj1024ELj64ELj16384ELj137ELj32EllEEvT5_PKS1_S3_PKT4_S3_S6_S3_S6_S3_S6_PS1_21rocsparse_index_base_S8_S8_S8_bb,"axG",@progbits,_ZN9rocsparseL35csrgemm_symbolic_fill_block_per_rowILj1024ELj64ELj16384ELj137ELj32EllEEvT5_PKS1_S3_PKT4_S3_S6_S3_S6_S3_S6_PS1_21rocsparse_index_base_S8_S8_S8_bb,comdat
.Lfunc_end64:
	.size	_ZN9rocsparseL35csrgemm_symbolic_fill_block_per_rowILj1024ELj64ELj16384ELj137ELj32EllEEvT5_PKS1_S3_PKT4_S3_S6_S3_S6_S3_S6_PS1_21rocsparse_index_base_S8_S8_S8_bb, .Lfunc_end64-_ZN9rocsparseL35csrgemm_symbolic_fill_block_per_rowILj1024ELj64ELj16384ELj137ELj32EllEEvT5_PKS1_S3_PKT4_S3_S6_S3_S6_S3_S6_PS1_21rocsparse_index_base_S8_S8_S8_bb
                                        ; -- End function
	.set _ZN9rocsparseL35csrgemm_symbolic_fill_block_per_rowILj1024ELj64ELj16384ELj137ELj32EllEEvT5_PKS1_S3_PKT4_S3_S6_S3_S6_S3_S6_PS1_21rocsparse_index_base_S8_S8_S8_bb.num_vgpr, 19
	.set _ZN9rocsparseL35csrgemm_symbolic_fill_block_per_rowILj1024ELj64ELj16384ELj137ELj32EllEEvT5_PKS1_S3_PKT4_S3_S6_S3_S6_S3_S6_PS1_21rocsparse_index_base_S8_S8_S8_bb.num_agpr, 0
	.set _ZN9rocsparseL35csrgemm_symbolic_fill_block_per_rowILj1024ELj64ELj16384ELj137ELj32EllEEvT5_PKS1_S3_PKT4_S3_S6_S3_S6_S3_S6_PS1_21rocsparse_index_base_S8_S8_S8_bb.numbered_sgpr, 76
	.set _ZN9rocsparseL35csrgemm_symbolic_fill_block_per_rowILj1024ELj64ELj16384ELj137ELj32EllEEvT5_PKS1_S3_PKT4_S3_S6_S3_S6_S3_S6_PS1_21rocsparse_index_base_S8_S8_S8_bb.num_named_barrier, 0
	.set _ZN9rocsparseL35csrgemm_symbolic_fill_block_per_rowILj1024ELj64ELj16384ELj137ELj32EllEEvT5_PKS1_S3_PKT4_S3_S6_S3_S6_S3_S6_PS1_21rocsparse_index_base_S8_S8_S8_bb.private_seg_size, 0
	.set _ZN9rocsparseL35csrgemm_symbolic_fill_block_per_rowILj1024ELj64ELj16384ELj137ELj32EllEEvT5_PKS1_S3_PKT4_S3_S6_S3_S6_S3_S6_PS1_21rocsparse_index_base_S8_S8_S8_bb.uses_vcc, 1
	.set _ZN9rocsparseL35csrgemm_symbolic_fill_block_per_rowILj1024ELj64ELj16384ELj137ELj32EllEEvT5_PKS1_S3_PKT4_S3_S6_S3_S6_S3_S6_PS1_21rocsparse_index_base_S8_S8_S8_bb.uses_flat_scratch, 0
	.set _ZN9rocsparseL35csrgemm_symbolic_fill_block_per_rowILj1024ELj64ELj16384ELj137ELj32EllEEvT5_PKS1_S3_PKT4_S3_S6_S3_S6_S3_S6_PS1_21rocsparse_index_base_S8_S8_S8_bb.has_dyn_sized_stack, 0
	.set _ZN9rocsparseL35csrgemm_symbolic_fill_block_per_rowILj1024ELj64ELj16384ELj137ELj32EllEEvT5_PKS1_S3_PKT4_S3_S6_S3_S6_S3_S6_PS1_21rocsparse_index_base_S8_S8_S8_bb.has_recursion, 0
	.set _ZN9rocsparseL35csrgemm_symbolic_fill_block_per_rowILj1024ELj64ELj16384ELj137ELj32EllEEvT5_PKS1_S3_PKT4_S3_S6_S3_S6_S3_S6_PS1_21rocsparse_index_base_S8_S8_S8_bb.has_indirect_call, 0
	.section	.AMDGPU.csdata,"",@progbits
; Kernel info:
; codeLenInByte = 3968
; TotalNumSgprs: 78
; NumVgprs: 19
; ScratchSize: 0
; MemoryBound: 0
; FloatMode: 240
; IeeeMode: 1
; LDSByteSize: 0 bytes/workgroup (compile time only)
; SGPRBlocks: 0
; VGPRBlocks: 1
; NumSGPRsForWavesPerEU: 78
; NumVGPRsForWavesPerEU: 19
; NamedBarCnt: 0
; Occupancy: 16
; WaveLimiterHint : 1
; COMPUTE_PGM_RSRC2:SCRATCH_EN: 0
; COMPUTE_PGM_RSRC2:USER_SGPR: 2
; COMPUTE_PGM_RSRC2:TRAP_HANDLER: 0
; COMPUTE_PGM_RSRC2:TGID_X_EN: 1
; COMPUTE_PGM_RSRC2:TGID_Y_EN: 0
; COMPUTE_PGM_RSRC2:TGID_Z_EN: 0
; COMPUTE_PGM_RSRC2:TIDIG_COMP_CNT: 0
	.section	.text._ZN9rocsparseL35csrgemm_symbolic_fill_block_per_rowILj1024ELj64ELj16384ELj137ELj64EllEEvT5_PKS1_S3_PKT4_S3_S6_S3_S6_S3_S6_PS1_21rocsparse_index_base_S8_S8_S8_bb,"axG",@progbits,_ZN9rocsparseL35csrgemm_symbolic_fill_block_per_rowILj1024ELj64ELj16384ELj137ELj64EllEEvT5_PKS1_S3_PKT4_S3_S6_S3_S6_S3_S6_PS1_21rocsparse_index_base_S8_S8_S8_bb,comdat
	.globl	_ZN9rocsparseL35csrgemm_symbolic_fill_block_per_rowILj1024ELj64ELj16384ELj137ELj64EllEEvT5_PKS1_S3_PKT4_S3_S6_S3_S6_S3_S6_PS1_21rocsparse_index_base_S8_S8_S8_bb ; -- Begin function _ZN9rocsparseL35csrgemm_symbolic_fill_block_per_rowILj1024ELj64ELj16384ELj137ELj64EllEEvT5_PKS1_S3_PKT4_S3_S6_S3_S6_S3_S6_PS1_21rocsparse_index_base_S8_S8_S8_bb
	.p2align	8
	.type	_ZN9rocsparseL35csrgemm_symbolic_fill_block_per_rowILj1024ELj64ELj16384ELj137ELj64EllEEvT5_PKS1_S3_PKT4_S3_S6_S3_S6_S3_S6_PS1_21rocsparse_index_base_S8_S8_S8_bb,@function
_ZN9rocsparseL35csrgemm_symbolic_fill_block_per_rowILj1024ELj64ELj16384ELj137ELj64EllEEvT5_PKS1_S3_PKT4_S3_S6_S3_S6_S3_S6_PS1_21rocsparse_index_base_S8_S8_S8_bb: ; @_ZN9rocsparseL35csrgemm_symbolic_fill_block_per_rowILj1024ELj64ELj16384ELj137ELj64EllEEvT5_PKS1_S3_PKT4_S3_S6_S3_S6_S3_S6_PS1_21rocsparse_index_base_S8_S8_S8_bb
; %bb.0:
	s_clause 0x3
	s_load_b256 s[16:23], s[0:1], 0x0
	s_load_b64 s[34:35], s[0:1], 0x50
	s_load_b128 s[28:31], s[0:1], 0x40
	s_load_b256 s[4:11], s[0:1], 0x20
	v_lshl_add_u32 v15, v0, 3, 0
	v_or_b32_e32 v18, 0xfffffc00, v0
	s_mov_b32 s2, 0
	s_delay_alu instid0(VALU_DEP_1)
	v_dual_mov_b32 v1, v15 :: v_dual_mov_b32 v4, v18
	s_wait_kmcnt 0x0
	v_mov_b64_e32 v[2:3], s[16:17]
.LBB65_1:                               ; =>This Inner Loop Header: Depth=1
	s_delay_alu instid0(VALU_DEP_2) | instskip(SKIP_4) | instid1(SALU_CYCLE_1)
	v_add_nc_u32_e32 v4, 0x400, v4
	ds_store_b64 v1, v[2:3]
	v_add_nc_u32_e32 v1, 0x2000, v1
	v_cmp_lt_u32_e32 vcc_lo, 0x3bff, v4
	s_or_b32 s2, vcc_lo, s2
	s_and_not1_b32 exec_lo, exec_lo, s2
	s_cbranch_execnz .LBB65_1
; %bb.2:
	s_or_b32 exec_lo, exec_lo, s2
	s_load_b32 s14, s[0:1], 0x68
	s_wait_dscnt 0x0
	s_barrier_signal -1
	s_barrier_wait -1
	s_load_b64 s[2:3], s[18:19], 0x0
	s_wait_xcnt 0x0
	s_getreg_b32 s18, hwreg(HW_REG_IB_STS2, 6, 4)
	v_lshrrev_b32_e32 v2, 6, v0
	s_wait_kmcnt 0x0
	s_bitcmp1_b32 s14, 0
	s_cselect_b32 s12, -1, 0
	s_bfe_u32 s13, ttmp6, 0x4000c
	s_and_b32 s15, ttmp6, 15
	s_add_co_i32 s13, s13, 1
	s_lshl_b64 s[2:3], s[2:3], 3
	s_mul_i32 s13, ttmp9, s13
	s_add_nc_u64 s[2:3], s[20:21], s[2:3]
	s_add_co_i32 s15, s15, s13
	s_cmp_eq_u32 s18, 0
	s_cselect_b32 s13, ttmp9, s15
	s_load_b128 s[24:27], s[0:1], 0x58
	s_load_b64 s[18:19], s[2:3], s13 offset:0x0 scale_offset
	s_and_b32 vcc_lo, exec_lo, s12
	s_wait_xcnt 0x0
	s_mov_b32 s1, 0
	s_cbranch_vccz .LBB65_18
; %bb.3:
	s_wait_kmcnt 0x0
	s_lshl_b64 s[2:3], s[18:19], 3
	v_mov_b32_e32 v3, 0
	s_add_nc_u64 s[2:3], s[22:23], s[2:3]
	s_mov_b32 s0, s24
	s_load_b128 s[20:23], s[2:3], 0x0
	s_mov_b32 s15, exec_lo
	v_sub_nc_u64_e64 v[4:5], v[2:3], s[0:1]
	s_wait_kmcnt 0x0
	s_delay_alu instid0(VALU_DEP_1)
	v_add_nc_u64_e32 v[4:5], s[20:21], v[4:5]
	s_sub_nc_u64 s[2:3], s[22:23], s[0:1]
	s_delay_alu instid0(VALU_DEP_1) | instid1(SALU_CYCLE_1)
	v_cmpx_gt_i64_e64 s[2:3], v[4:5]
	s_cbranch_execz .LBB65_17
; %bb.4:
	v_dual_mov_b32 v7, v3 :: v_dual_bitop2_b32 v6, 63, v0 bitop3:0x40
	s_mov_b32 s13, 0
	s_mov_b32 s12, s25
	;; [unrolled: 1-line block ×3, first 2 shown]
	s_delay_alu instid0(VALU_DEP_1)
	v_sub_nc_u64_e64 v[6:7], v[6:7], s[12:13]
	s_branch .LBB65_6
.LBB65_5:                               ;   in Loop: Header=BB65_6 Depth=1
	s_or_b32 exec_lo, exec_lo, s21
	v_add_nc_u64_e32 v[4:5], 16, v[4:5]
	s_delay_alu instid0(VALU_DEP_1) | instskip(SKIP_1) | instid1(SALU_CYCLE_1)
	v_cmp_le_i64_e32 vcc_lo, s[2:3], v[4:5]
	s_or_b32 s20, vcc_lo, s20
	s_and_not1_b32 exec_lo, exec_lo, s20
	s_cbranch_execz .LBB65_17
.LBB65_6:                               ; =>This Loop Header: Depth=1
                                        ;     Child Loop BB65_9 Depth 2
                                        ;       Child Loop BB65_12 Depth 3
	v_lshl_add_u64 v[8:9], v[4:5], 3, s[4:5]
	s_mov_b32 s21, exec_lo
	global_load_b64 v[8:9], v[8:9], off
	s_wait_loadcnt 0x0
	v_sub_nc_u64_e64 v[8:9], v[8:9], s[0:1]
	s_delay_alu instid0(VALU_DEP_1) | instskip(SKIP_4) | instid1(VALU_DEP_1)
	v_lshl_add_u64 v[8:9], v[8:9], 3, s[6:7]
	global_load_b128 v[10:13], v[8:9], off
	s_wait_loadcnt 0x0
	v_sub_nc_u64_e64 v[8:9], v[12:13], s[12:13]
	v_add_nc_u64_e32 v[10:11], v[10:11], v[6:7]
	v_cmpx_lt_i64_e64 v[10:11], v[8:9]
	s_cbranch_execz .LBB65_5
; %bb.7:                                ;   in Loop: Header=BB65_6 Depth=1
	s_mov_b32 s22, 0
	s_branch .LBB65_9
.LBB65_8:                               ;   in Loop: Header=BB65_9 Depth=2
	s_or_b32 exec_lo, exec_lo, s23
	v_add_nc_u64_e32 v[10:11], 64, v[10:11]
	s_delay_alu instid0(VALU_DEP_1) | instskip(SKIP_1) | instid1(SALU_CYCLE_1)
	v_cmp_ge_i64_e32 vcc_lo, v[10:11], v[8:9]
	s_or_b32 s22, vcc_lo, s22
	s_and_not1_b32 exec_lo, exec_lo, s22
	s_cbranch_execz .LBB65_5
.LBB65_9:                               ;   Parent Loop BB65_6 Depth=1
                                        ; =>  This Loop Header: Depth=2
                                        ;       Child Loop BB65_12 Depth 3
	v_lshl_add_u64 v[12:13], v[10:11], 3, s[8:9]
	s_mov_b32 s23, 0
                                        ; implicit-def: $sgpr24
	global_load_b64 v[12:13], v[12:13], off
	s_wait_loadcnt 0x0
	v_sub_nc_u64_e64 v[12:13], v[12:13], s[12:13]
	s_delay_alu instid0(VALU_DEP_1) | instskip(NEXT) | instid1(VALU_DEP_1)
	v_mul_lo_u32 v1, 0x89, v12
	v_and_b32_e32 v14, 0x3fff, v1
	s_branch .LBB65_12
.LBB65_10:                              ;   in Loop: Header=BB65_12 Depth=3
	s_or_b32 exec_lo, exec_lo, s33
	s_delay_alu instid0(SALU_CYCLE_1) | instskip(SKIP_1) | instid1(SALU_CYCLE_1)
	s_and_not1_b32 s24, s24, exec_lo
	s_and_b32 s33, s36, exec_lo
	s_or_b32 s24, s24, s33
.LBB65_11:                              ;   in Loop: Header=BB65_12 Depth=3
	s_or_b32 exec_lo, exec_lo, s25
	s_xor_b32 s25, s24, -1
	s_delay_alu instid0(SALU_CYCLE_1) | instskip(NEXT) | instid1(SALU_CYCLE_1)
	s_and_b32 s25, exec_lo, s25
	s_or_b32 s23, s25, s23
	s_delay_alu instid0(SALU_CYCLE_1)
	s_and_not1_b32 exec_lo, exec_lo, s23
	s_cbranch_execz .LBB65_8
.LBB65_12:                              ;   Parent Loop BB65_6 Depth=1
                                        ;     Parent Loop BB65_9 Depth=2
                                        ; =>    This Inner Loop Header: Depth=3
	s_delay_alu instid0(VALU_DEP_1)
	v_lshl_add_u32 v1, v14, 3, 0
	s_and_not1_b32 s24, s24, exec_lo
	s_mov_b32 s25, exec_lo
	ds_load_b64 v[16:17], v1
	s_wait_dscnt 0x0
	v_cmpx_ne_u64_e64 v[16:17], v[12:13]
	s_cbranch_execz .LBB65_11
; %bb.13:                               ;   in Loop: Header=BB65_12 Depth=3
	s_mov_b32 s33, exec_lo
	v_cmpx_ne_u64_e64 s[16:17], v[16:17]
	s_xor_b32 s33, exec_lo, s33
; %bb.14:                               ;   in Loop: Header=BB65_12 Depth=3
	v_add_nc_u32_e32 v1, 1, v14
	s_delay_alu instid0(VALU_DEP_1)
	v_and_b32_e32 v14, 0x3fff, v1
                                        ; implicit-def: $vgpr1
; %bb.15:                               ;   in Loop: Header=BB65_12 Depth=3
	s_or_saveexec_b32 s33, s33
	s_mov_b32 s36, -1
	s_xor_b32 exec_lo, exec_lo, s33
	s_cbranch_execz .LBB65_10
; %bb.16:                               ;   in Loop: Header=BB65_12 Depth=3
	v_mov_b64_e32 v[16:17], s[16:17]
	ds_cmpstore_rtn_b64 v[16:17], v1, v[12:13], v[16:17]
	s_wait_dscnt 0x0
	v_cmp_ne_u64_e32 vcc_lo, s[16:17], v[16:17]
	s_or_not1_b32 s36, vcc_lo, exec_lo
	s_branch .LBB65_10
.LBB65_17:
	s_or_b32 exec_lo, exec_lo, s15
.LBB65_18:
	s_bfe_u32 s0, s14, 0x10008
	s_delay_alu instid0(SALU_CYCLE_1)
	s_cmp_eq_u32 s0, 0
	s_cbranch_scc1 .LBB65_31
; %bb.19:
	s_wait_kmcnt 0x0
	s_lshl_b64 s[0:1], s[18:19], 3
	v_mov_b32_e32 v1, 0
	s_add_nc_u64 s[0:1], s[10:11], s[0:1]
	s_load_b128 s[4:7], s[0:1], 0x0
	s_wait_xcnt 0x0
	s_mov_b32 s1, 0
	s_mov_b32 s0, s27
	s_delay_alu instid0(SALU_CYCLE_1) | instskip(SKIP_1) | instid1(VALU_DEP_1)
	v_sub_nc_u64_e64 v[4:5], v[0:1], s[0:1]
	s_wait_kmcnt 0x0
	v_add_nc_u64_e32 v[4:5], s[4:5], v[4:5]
	s_sub_nc_u64 s[2:3], s[6:7], s[0:1]
	s_mov_b32 s4, exec_lo
	s_delay_alu instid0(VALU_DEP_1)
	v_cmpx_gt_i64_e64 s[2:3], v[4:5]
	s_cbranch_execz .LBB65_30
; %bb.20:
	s_mov_b32 s5, s1
	s_branch .LBB65_22
.LBB65_21:                              ;   in Loop: Header=BB65_22 Depth=1
	s_or_b32 exec_lo, exec_lo, s6
	v_add_nc_u64_e32 v[4:5], 0x400, v[4:5]
	s_delay_alu instid0(VALU_DEP_1) | instskip(SKIP_1) | instid1(SALU_CYCLE_1)
	v_cmp_le_i64_e32 vcc_lo, s[2:3], v[4:5]
	s_or_b32 s5, vcc_lo, s5
	s_and_not1_b32 exec_lo, exec_lo, s5
	s_cbranch_execz .LBB65_30
.LBB65_22:                              ; =>This Loop Header: Depth=1
                                        ;     Child Loop BB65_25 Depth 2
	v_lshl_add_u64 v[6:7], v[4:5], 3, s[28:29]
	s_mov_b32 s6, 0
                                        ; implicit-def: $sgpr7
	global_load_b64 v[6:7], v[6:7], off
	s_wait_loadcnt 0x0
	v_sub_nc_u64_e64 v[6:7], v[6:7], s[0:1]
	s_delay_alu instid0(VALU_DEP_1) | instskip(NEXT) | instid1(VALU_DEP_1)
	v_mul_lo_u32 v1, 0x89, v6
	v_and_b32_e32 v8, 0x3fff, v1
	s_branch .LBB65_25
.LBB65_23:                              ;   in Loop: Header=BB65_25 Depth=2
	s_or_b32 exec_lo, exec_lo, s9
	s_delay_alu instid0(SALU_CYCLE_1) | instskip(SKIP_1) | instid1(SALU_CYCLE_1)
	s_and_not1_b32 s7, s7, exec_lo
	s_and_b32 s9, s10, exec_lo
	s_or_b32 s7, s7, s9
.LBB65_24:                              ;   in Loop: Header=BB65_25 Depth=2
	s_or_b32 exec_lo, exec_lo, s8
	s_xor_b32 s8, s7, -1
	s_delay_alu instid0(SALU_CYCLE_1) | instskip(NEXT) | instid1(SALU_CYCLE_1)
	s_and_b32 s8, exec_lo, s8
	s_or_b32 s6, s8, s6
	s_delay_alu instid0(SALU_CYCLE_1)
	s_and_not1_b32 exec_lo, exec_lo, s6
	s_cbranch_execz .LBB65_21
.LBB65_25:                              ;   Parent Loop BB65_22 Depth=1
                                        ; =>  This Inner Loop Header: Depth=2
	s_delay_alu instid0(VALU_DEP_1)
	v_lshl_add_u32 v1, v8, 3, 0
	s_and_not1_b32 s7, s7, exec_lo
	s_mov_b32 s8, exec_lo
	ds_load_b64 v[10:11], v1
	s_wait_dscnt 0x0
	v_cmpx_ne_u64_e64 v[10:11], v[6:7]
	s_cbranch_execz .LBB65_24
; %bb.26:                               ;   in Loop: Header=BB65_25 Depth=2
	s_mov_b32 s9, exec_lo
	v_cmpx_ne_u64_e64 s[16:17], v[10:11]
	s_xor_b32 s9, exec_lo, s9
; %bb.27:                               ;   in Loop: Header=BB65_25 Depth=2
	v_add_nc_u32_e32 v1, 1, v8
	s_delay_alu instid0(VALU_DEP_1)
	v_and_b32_e32 v8, 0x3fff, v1
                                        ; implicit-def: $vgpr1
; %bb.28:                               ;   in Loop: Header=BB65_25 Depth=2
	s_or_saveexec_b32 s9, s9
	s_mov_b32 s10, -1
	s_xor_b32 exec_lo, exec_lo, s9
	s_cbranch_execz .LBB65_23
; %bb.29:                               ;   in Loop: Header=BB65_25 Depth=2
	v_mov_b64_e32 v[10:11], s[16:17]
	ds_cmpstore_rtn_b64 v[10:11], v1, v[6:7], v[10:11]
	s_wait_dscnt 0x0
	v_cmp_ne_u64_e32 vcc_lo, s[16:17], v[10:11]
	s_or_not1_b32 s10, vcc_lo, exec_lo
	s_branch .LBB65_23
.LBB65_30:
	s_or_b32 exec_lo, exec_lo, s4
.LBB65_31:
	v_mbcnt_lo_u32_b32 v1, -1, 0
	v_lshlrev_b32_e32 v2, 3, v2
	v_mov_b64_e32 v[6:7], 0
	s_add_co_i32 s38, 0, 0x20078
	s_delay_alu instid0(SALU_CYCLE_1)
	v_dual_mov_b32 v3, 0 :: v_dual_mov_b32 v5, s38
	v_xor_b32_e32 v4, 31, v1
	v_add3_u32 v1, 0x20000, 0, v2
	v_cmp_lt_u32_e64 s0, 63, v0
	v_cmp_lt_u32_e64 s1, 0x7f, v0
	;; [unrolled: 1-line block ×3, first 2 shown]
	v_lshrrev_b32_e64 v4, v4, -1
	v_cmp_lt_u32_e64 s3, 0xff, v0
	v_cmp_lt_u32_e64 s4, 0x13f, v0
	;; [unrolled: 1-line block ×12, first 2 shown]
	s_mov_b32 s20, 0
	s_add_co_i32 s21, 0, 0x20000
	s_add_co_i32 s22, 0, 0x20008
	;; [unrolled: 1-line block ×3, first 2 shown]
	s_wait_kmcnt 0x0
	s_add_co_i32 s24, 0, 0x20018
	s_add_co_i32 s25, 0, 0x20020
	;; [unrolled: 1-line block ×12, first 2 shown]
	s_barrier_signal -1
	s_barrier_wait -1
	v_cmp_eq_u32_e32 vcc_lo, 0x3ff, v0
	s_branch .LBB65_33
.LBB65_32:                              ;   in Loop: Header=BB65_33 Depth=1
	s_or_b32 exec_lo, exec_lo, s15
	s_wait_dscnt 0x0
	s_barrier_signal -1
	s_barrier_wait -1
	ds_load_b64 v[8:9], v5
	v_add_nc_u32_e32 v18, 0x400, v18
	v_add_nc_u32_e32 v15, 0x2000, v15
	s_delay_alu instid0(VALU_DEP_2)
	v_cmp_lt_u32_e64 s15, 0x3bff, v18
	s_or_b32 s20, s15, s20
	s_wait_dscnt 0x0
	v_add_nc_u64_e32 v[6:7], v[8:9], v[6:7]
	s_and_not1_b32 exec_lo, exec_lo, s20
	s_cbranch_execz .LBB65_67
.LBB65_33:                              ; =>This Inner Loop Header: Depth=1
	ds_load_b64 v[8:9], v15
	s_wait_dscnt 0x0
	s_barrier_signal -1
	s_barrier_wait -1
	v_cmp_gt_i64_e64 s15, s[16:17], v[8:9]
	s_bcnt1_i32_b32 s43, s15
	s_delay_alu instid0(SALU_CYCLE_1) | instskip(NEXT) | instid1(VALU_DEP_1)
	v_dual_mov_b32 v2, s43 :: v_dual_bitop2_b32 v10, s15, v4 bitop3:0x40
	v_bcnt_u32_b32 v10, v10, 0
	ds_store_b64 v1, v[2:3]
	s_wait_dscnt 0x0
	s_barrier_signal -1
	s_barrier_wait -1
	s_and_saveexec_b32 s43, s0
	s_cbranch_execnz .LBB65_50
; %bb.34:                               ;   in Loop: Header=BB65_33 Depth=1
	s_or_b32 exec_lo, exec_lo, s43
	s_and_saveexec_b32 s43, s1
	s_cbranch_execnz .LBB65_51
.LBB65_35:                              ;   in Loop: Header=BB65_33 Depth=1
	s_or_b32 exec_lo, exec_lo, s43
	s_and_saveexec_b32 s43, s2
	s_cbranch_execnz .LBB65_52
.LBB65_36:                              ;   in Loop: Header=BB65_33 Depth=1
	s_or_b32 exec_lo, exec_lo, s43
	s_and_saveexec_b32 s43, s3
	s_cbranch_execnz .LBB65_53
.LBB65_37:                              ;   in Loop: Header=BB65_33 Depth=1
	s_or_b32 exec_lo, exec_lo, s43
	s_and_saveexec_b32 s43, s4
	s_cbranch_execnz .LBB65_54
.LBB65_38:                              ;   in Loop: Header=BB65_33 Depth=1
	s_or_b32 exec_lo, exec_lo, s43
	s_and_saveexec_b32 s43, s5
	s_cbranch_execnz .LBB65_55
.LBB65_39:                              ;   in Loop: Header=BB65_33 Depth=1
	s_or_b32 exec_lo, exec_lo, s43
	s_and_saveexec_b32 s43, s6
	s_cbranch_execnz .LBB65_56
.LBB65_40:                              ;   in Loop: Header=BB65_33 Depth=1
	s_or_b32 exec_lo, exec_lo, s43
	s_and_saveexec_b32 s43, s7
	s_cbranch_execnz .LBB65_57
.LBB65_41:                              ;   in Loop: Header=BB65_33 Depth=1
	s_or_b32 exec_lo, exec_lo, s43
	s_and_saveexec_b32 s43, s8
	s_cbranch_execnz .LBB65_58
.LBB65_42:                              ;   in Loop: Header=BB65_33 Depth=1
	s_or_b32 exec_lo, exec_lo, s43
	s_and_saveexec_b32 s43, s9
	s_cbranch_execnz .LBB65_59
.LBB65_43:                              ;   in Loop: Header=BB65_33 Depth=1
	s_or_b32 exec_lo, exec_lo, s43
	s_and_saveexec_b32 s43, s10
	s_cbranch_execnz .LBB65_60
.LBB65_44:                              ;   in Loop: Header=BB65_33 Depth=1
	s_or_b32 exec_lo, exec_lo, s43
	s_and_saveexec_b32 s43, s11
	s_cbranch_execnz .LBB65_61
.LBB65_45:                              ;   in Loop: Header=BB65_33 Depth=1
	s_or_b32 exec_lo, exec_lo, s43
	s_and_saveexec_b32 s43, s12
	s_cbranch_execnz .LBB65_62
.LBB65_46:                              ;   in Loop: Header=BB65_33 Depth=1
	s_or_b32 exec_lo, exec_lo, s43
	s_and_saveexec_b32 s43, s13
	s_cbranch_execnz .LBB65_63
.LBB65_47:                              ;   in Loop: Header=BB65_33 Depth=1
	s_or_b32 exec_lo, exec_lo, s43
	s_and_saveexec_b32 s43, s14
	s_cbranch_execnz .LBB65_64
.LBB65_48:                              ;   in Loop: Header=BB65_33 Depth=1
	s_or_b32 exec_lo, exec_lo, s43
	v_ashrrev_i32_e32 v11, 31, v10
	s_and_saveexec_b32 s43, s15
	s_cbranch_execnz .LBB65_65
.LBB65_49:                              ;   in Loop: Header=BB65_33 Depth=1
	s_or_b32 exec_lo, exec_lo, s43
	s_and_saveexec_b32 s15, vcc_lo
	s_cbranch_execz .LBB65_32
	s_branch .LBB65_66
.LBB65_50:                              ;   in Loop: Header=BB65_33 Depth=1
	v_mov_b32_e32 v2, s21
	ds_load_b32 v2, v2
	s_wait_dscnt 0x0
	v_add_nc_u32_e32 v10, v2, v10
	s_or_b32 exec_lo, exec_lo, s43
	s_and_saveexec_b32 s43, s1
	s_cbranch_execz .LBB65_35
.LBB65_51:                              ;   in Loop: Header=BB65_33 Depth=1
	v_mov_b32_e32 v2, s22
	ds_load_b32 v2, v2
	s_wait_dscnt 0x0
	v_add_nc_u32_e32 v10, v10, v2
	s_or_b32 exec_lo, exec_lo, s43
	s_and_saveexec_b32 s43, s2
	s_cbranch_execz .LBB65_36
.LBB65_52:                              ;   in Loop: Header=BB65_33 Depth=1
	v_mov_b32_e32 v2, s23
	ds_load_b32 v2, v2
	s_wait_dscnt 0x0
	v_add_nc_u32_e32 v10, v10, v2
	s_or_b32 exec_lo, exec_lo, s43
	s_and_saveexec_b32 s43, s3
	s_cbranch_execz .LBB65_37
.LBB65_53:                              ;   in Loop: Header=BB65_33 Depth=1
	v_mov_b32_e32 v2, s24
	ds_load_b32 v2, v2
	s_wait_dscnt 0x0
	v_add_nc_u32_e32 v10, v10, v2
	s_or_b32 exec_lo, exec_lo, s43
	s_and_saveexec_b32 s43, s4
	s_cbranch_execz .LBB65_38
.LBB65_54:                              ;   in Loop: Header=BB65_33 Depth=1
	v_mov_b32_e32 v2, s25
	ds_load_b32 v2, v2
	s_wait_dscnt 0x0
	v_add_nc_u32_e32 v10, v10, v2
	s_or_b32 exec_lo, exec_lo, s43
	s_and_saveexec_b32 s43, s5
	s_cbranch_execz .LBB65_39
.LBB65_55:                              ;   in Loop: Header=BB65_33 Depth=1
	v_mov_b32_e32 v2, s27
	ds_load_b32 v2, v2
	s_wait_dscnt 0x0
	v_add_nc_u32_e32 v10, v10, v2
	s_or_b32 exec_lo, exec_lo, s43
	s_and_saveexec_b32 s43, s6
	s_cbranch_execz .LBB65_40
.LBB65_56:                              ;   in Loop: Header=BB65_33 Depth=1
	v_mov_b32_e32 v2, s28
	ds_load_b32 v2, v2
	s_wait_dscnt 0x0
	v_add_nc_u32_e32 v10, v10, v2
	s_or_b32 exec_lo, exec_lo, s43
	s_and_saveexec_b32 s43, s7
	s_cbranch_execz .LBB65_41
.LBB65_57:                              ;   in Loop: Header=BB65_33 Depth=1
	v_mov_b32_e32 v2, s29
	ds_load_b32 v2, v2
	s_wait_dscnt 0x0
	v_add_nc_u32_e32 v10, v10, v2
	s_or_b32 exec_lo, exec_lo, s43
	s_and_saveexec_b32 s43, s8
	s_cbranch_execz .LBB65_42
.LBB65_58:                              ;   in Loop: Header=BB65_33 Depth=1
	v_mov_b32_e32 v2, s33
	ds_load_b32 v2, v2
	s_wait_dscnt 0x0
	v_add_nc_u32_e32 v10, v10, v2
	s_or_b32 exec_lo, exec_lo, s43
	s_and_saveexec_b32 s43, s9
	s_cbranch_execz .LBB65_43
.LBB65_59:                              ;   in Loop: Header=BB65_33 Depth=1
	v_mov_b32_e32 v2, s36
	ds_load_b32 v2, v2
	s_wait_dscnt 0x0
	v_add_nc_u32_e32 v10, v10, v2
	s_or_b32 exec_lo, exec_lo, s43
	s_and_saveexec_b32 s43, s10
	s_cbranch_execz .LBB65_44
.LBB65_60:                              ;   in Loop: Header=BB65_33 Depth=1
	v_mov_b32_e32 v2, s37
	ds_load_b32 v2, v2
	s_wait_dscnt 0x0
	v_add_nc_u32_e32 v10, v10, v2
	s_or_b32 exec_lo, exec_lo, s43
	s_and_saveexec_b32 s43, s11
	s_cbranch_execz .LBB65_45
.LBB65_61:                              ;   in Loop: Header=BB65_33 Depth=1
	v_mov_b32_e32 v2, s39
	ds_load_b32 v2, v2
	s_wait_dscnt 0x0
	v_add_nc_u32_e32 v10, v10, v2
	s_or_b32 exec_lo, exec_lo, s43
	s_and_saveexec_b32 s43, s12
	s_cbranch_execz .LBB65_46
.LBB65_62:                              ;   in Loop: Header=BB65_33 Depth=1
	v_mov_b32_e32 v2, s40
	ds_load_b32 v2, v2
	s_wait_dscnt 0x0
	v_add_nc_u32_e32 v10, v10, v2
	s_or_b32 exec_lo, exec_lo, s43
	s_and_saveexec_b32 s43, s13
	s_cbranch_execz .LBB65_47
.LBB65_63:                              ;   in Loop: Header=BB65_33 Depth=1
	v_mov_b32_e32 v2, s41
	ds_load_b32 v2, v2
	s_wait_dscnt 0x0
	v_add_nc_u32_e32 v10, v10, v2
	s_or_b32 exec_lo, exec_lo, s43
	s_and_saveexec_b32 s43, s14
	s_cbranch_execz .LBB65_48
.LBB65_64:                              ;   in Loop: Header=BB65_33 Depth=1
	v_mov_b32_e32 v2, s42
	ds_load_b32 v2, v2
	s_wait_dscnt 0x0
	v_add_nc_u32_e32 v10, v10, v2
	s_or_b32 exec_lo, exec_lo, s43
	s_delay_alu instid0(VALU_DEP_1)
	v_ashrrev_i32_e32 v11, 31, v10
	s_and_saveexec_b32 s43, s15
	s_cbranch_execz .LBB65_49
.LBB65_65:                              ;   in Loop: Header=BB65_33 Depth=1
	v_lshlrev_b32_e32 v2, 3, v6
	v_lshlrev_b32_e32 v12, 3, v10
	s_delay_alu instid0(VALU_DEP_2) | instskip(NEXT) | instid1(VALU_DEP_1)
	v_add_nc_u32_e32 v2, 0, v2
	v_add3_u32 v2, v2, v12, -8
	ds_store_b64 v2, v[8:9]
	s_or_b32 exec_lo, exec_lo, s43
	s_and_saveexec_b32 s15, vcc_lo
	s_cbranch_execz .LBB65_32
.LBB65_66:                              ;   in Loop: Header=BB65_33 Depth=1
	v_mov_b32_e32 v2, s38
	ds_store_b64 v2, v[10:11]
	s_branch .LBB65_32
.LBB65_67:
	s_or_b32 exec_lo, exec_lo, s20
	s_lshl_b64 s[0:1], s[18:19], 3
	v_mov_b32_e32 v1, 0
	s_add_nc_u64 s[4:5], s[30:31], s[0:1]
	s_mov_b32 s6, exec_lo
	s_load_b128 s[0:3], s[4:5], 0x0
	s_wait_kmcnt 0x0
	s_sub_nc_u64 s[4:5], s[2:3], s[0:1]
	s_delay_alu instid0(SALU_CYCLE_1)
	v_cmpx_gt_i64_e64 s[4:5], v[0:1]
	s_cbranch_execz .LBB65_77
; %bb.68:
	s_sub_nc_u64 s[8:9], s[0:1], s[2:3]
	s_and_b64 s[6:7], s[4:5], 7
	v_cmp_lt_u64_e64 s10, s[8:9], -7
	s_and_b64 s[2:3], s[4:5], -8
	s_mov_b32 s27, 0
	s_cmp_lg_u64 s[6:7], 0
	s_sub_nc_u64 s[0:1], s[0:1], s[26:27]
	s_cselect_b32 s11, -1, 0
	s_mov_b32 s12, s27
	s_branch .LBB65_70
.LBB65_69:                              ;   in Loop: Header=BB65_70 Depth=1
	v_add_nc_u64_e32 v[0:1], 0x400, v[0:1]
	s_wait_dscnt 0x0
	v_add_nc_u64_e32 v[2:3], s[26:27], v[2:3]
	s_delay_alu instid0(VALU_DEP_3) | instskip(NEXT) | instid1(VALU_DEP_3)
	v_lshl_add_u64 v[4:5], v[4:5], 3, s[34:35]
	v_cmp_le_i64_e32 vcc_lo, s[4:5], v[0:1]
	global_store_b64 v[4:5], v[2:3], off
	s_or_b32 s12, vcc_lo, s12
	s_wait_xcnt 0x0
	s_and_not1_b32 exec_lo, exec_lo, s12
	s_cbranch_execz .LBB65_77
.LBB65_70:                              ; =>This Loop Header: Depth=1
                                        ;     Child Loop BB65_72 Depth 2
                                        ;     Child Loop BB65_76 Depth 2
	v_lshl_add_u32 v2, v0, 3, 0
	v_mov_b64_e32 v[4:5], s[0:1]
	s_and_not1_b32 vcc_lo, exec_lo, s10
	s_mov_b64 s[8:9], 0
	ds_load_b64 v[2:3], v2
	s_cbranch_vccnz .LBB65_74
; %bb.71:                               ;   in Loop: Header=BB65_70 Depth=1
	v_mov_b64_e32 v[4:5], s[0:1]
	s_mov_b32 s13, 0
.LBB65_72:                              ;   Parent Loop BB65_70 Depth=1
                                        ; =>  This Inner Loop Header: Depth=2
	s_delay_alu instid0(SALU_CYCLE_1)
	v_dual_mov_b32 v18, s13 :: v_dual_mov_b32 v15, s27
	v_mov_b32_e32 v17, s27
	s_add_nc_u64 s[8:9], s[8:9], 8
	s_add_co_i32 s13, s13, 64
	ds_load_2addr_b64 v[6:9], v18 offset1:1
	ds_load_2addr_b64 v[10:13], v18 offset0:2 offset1:3
	s_cmp_eq_u64 s[2:3], s[8:9]
	s_wait_dscnt 0x1
	v_cmp_gt_i64_e32 vcc_lo, v[2:3], v[6:7]
	v_cndmask_b32_e64 v14, 0, 1, vcc_lo
	v_cmp_gt_i64_e32 vcc_lo, v[2:3], v[8:9]
	s_delay_alu instid0(VALU_DEP_2) | instskip(SKIP_4) | instid1(VALU_DEP_2)
	v_add_nc_u64_e32 v[8:9], v[4:5], v[14:15]
	ds_load_2addr_b64 v[4:7], v18 offset0:4 offset1:5
	v_cndmask_b32_e64 v16, 0, 1, vcc_lo
	s_wait_dscnt 0x1
	v_cmp_gt_i64_e32 vcc_lo, v[2:3], v[10:11]
	v_add_nc_u64_e32 v[8:9], v[8:9], v[16:17]
	v_cndmask_b32_e64 v14, 0, 1, vcc_lo
	v_cmp_gt_i64_e32 vcc_lo, v[2:3], v[12:13]
	s_delay_alu instid0(VALU_DEP_2)
	v_add_nc_u64_e32 v[12:13], v[8:9], v[14:15]
	ds_load_2addr_b64 v[8:11], v18 offset0:6 offset1:7
	v_cndmask_b32_e64 v16, 0, 1, vcc_lo
	s_wait_dscnt 0x1
	v_cmp_gt_i64_e32 vcc_lo, v[2:3], v[4:5]
	v_mov_b32_e32 v5, s27
	s_delay_alu instid0(VALU_DEP_3) | instskip(SKIP_3) | instid1(VALU_DEP_3)
	v_add_nc_u64_e32 v[12:13], v[12:13], v[16:17]
	v_cndmask_b32_e64 v14, 0, 1, vcc_lo
	v_cmp_gt_i64_e32 vcc_lo, v[2:3], v[6:7]
	v_mov_b32_e32 v7, s27
	v_add_nc_u64_e32 v[12:13], v[12:13], v[14:15]
	v_cndmask_b32_e64 v4, 0, 1, vcc_lo
	s_wait_dscnt 0x0
	v_cmp_gt_i64_e32 vcc_lo, v[2:3], v[8:9]
	v_mov_b32_e32 v9, s27
	s_delay_alu instid0(VALU_DEP_3) | instskip(SKIP_2) | instid1(VALU_DEP_2)
	v_add_nc_u64_e32 v[4:5], v[12:13], v[4:5]
	v_cndmask_b32_e64 v6, 0, 1, vcc_lo
	v_cmp_gt_i64_e32 vcc_lo, v[2:3], v[10:11]
	v_add_nc_u64_e32 v[4:5], v[4:5], v[6:7]
	v_cndmask_b32_e64 v8, 0, 1, vcc_lo
	s_delay_alu instid0(VALU_DEP_1)
	v_add_nc_u64_e32 v[4:5], v[4:5], v[8:9]
	s_cbranch_scc0 .LBB65_72
; %bb.73:                               ;   in Loop: Header=BB65_70 Depth=1
	s_mov_b64 s[8:9], s[2:3]
.LBB65_74:                              ;   in Loop: Header=BB65_70 Depth=1
	s_and_not1_b32 vcc_lo, exec_lo, s11
	s_cbranch_vccnz .LBB65_69
; %bb.75:                               ;   in Loop: Header=BB65_70 Depth=1
	s_lshl_b32 s8, s8, 3
	s_delay_alu instid0(SALU_CYCLE_1)
	s_add_co_i32 s13, s8, 0
	s_mov_b64 s[8:9], s[6:7]
.LBB65_76:                              ;   Parent Loop BB65_70 Depth=1
                                        ; =>  This Inner Loop Header: Depth=2
	v_dual_mov_b32 v6, s13 :: v_dual_mov_b32 v9, s27
	s_add_nc_u64 s[8:9], s[8:9], -1
	s_add_co_i32 s13, s13, 8
	s_cmp_lg_u64 s[8:9], 0
	ds_load_b64 v[6:7], v6
	s_wait_dscnt 0x0
	v_cmp_gt_i64_e32 vcc_lo, v[2:3], v[6:7]
	v_cndmask_b32_e64 v8, 0, 1, vcc_lo
	s_delay_alu instid0(VALU_DEP_1)
	v_add_nc_u64_e32 v[4:5], v[4:5], v[8:9]
	s_cbranch_scc1 .LBB65_76
	s_branch .LBB65_69
.LBB65_77:
	s_endpgm
	.section	.rodata,"a",@progbits
	.p2align	6, 0x0
	.amdhsa_kernel _ZN9rocsparseL35csrgemm_symbolic_fill_block_per_rowILj1024ELj64ELj16384ELj137ELj64EllEEvT5_PKS1_S3_PKT4_S3_S6_S3_S6_S3_S6_PS1_21rocsparse_index_base_S8_S8_S8_bb
		.amdhsa_group_segment_fixed_size 0
		.amdhsa_private_segment_fixed_size 0
		.amdhsa_kernarg_size 108
		.amdhsa_user_sgpr_count 2
		.amdhsa_user_sgpr_dispatch_ptr 0
		.amdhsa_user_sgpr_queue_ptr 0
		.amdhsa_user_sgpr_kernarg_segment_ptr 1
		.amdhsa_user_sgpr_dispatch_id 0
		.amdhsa_user_sgpr_kernarg_preload_length 0
		.amdhsa_user_sgpr_kernarg_preload_offset 0
		.amdhsa_user_sgpr_private_segment_size 0
		.amdhsa_wavefront_size32 1
		.amdhsa_uses_dynamic_stack 0
		.amdhsa_enable_private_segment 0
		.amdhsa_system_sgpr_workgroup_id_x 1
		.amdhsa_system_sgpr_workgroup_id_y 0
		.amdhsa_system_sgpr_workgroup_id_z 0
		.amdhsa_system_sgpr_workgroup_info 0
		.amdhsa_system_vgpr_workitem_id 0
		.amdhsa_next_free_vgpr 19
		.amdhsa_next_free_sgpr 44
		.amdhsa_named_barrier_count 0
		.amdhsa_reserve_vcc 1
		.amdhsa_float_round_mode_32 0
		.amdhsa_float_round_mode_16_64 0
		.amdhsa_float_denorm_mode_32 3
		.amdhsa_float_denorm_mode_16_64 3
		.amdhsa_fp16_overflow 0
		.amdhsa_memory_ordered 1
		.amdhsa_forward_progress 1
		.amdhsa_inst_pref_size 24
		.amdhsa_round_robin_scheduling 0
		.amdhsa_exception_fp_ieee_invalid_op 0
		.amdhsa_exception_fp_denorm_src 0
		.amdhsa_exception_fp_ieee_div_zero 0
		.amdhsa_exception_fp_ieee_overflow 0
		.amdhsa_exception_fp_ieee_underflow 0
		.amdhsa_exception_fp_ieee_inexact 0
		.amdhsa_exception_int_div_zero 0
	.end_amdhsa_kernel
	.section	.text._ZN9rocsparseL35csrgemm_symbolic_fill_block_per_rowILj1024ELj64ELj16384ELj137ELj64EllEEvT5_PKS1_S3_PKT4_S3_S6_S3_S6_S3_S6_PS1_21rocsparse_index_base_S8_S8_S8_bb,"axG",@progbits,_ZN9rocsparseL35csrgemm_symbolic_fill_block_per_rowILj1024ELj64ELj16384ELj137ELj64EllEEvT5_PKS1_S3_PKT4_S3_S6_S3_S6_S3_S6_PS1_21rocsparse_index_base_S8_S8_S8_bb,comdat
.Lfunc_end65:
	.size	_ZN9rocsparseL35csrgemm_symbolic_fill_block_per_rowILj1024ELj64ELj16384ELj137ELj64EllEEvT5_PKS1_S3_PKT4_S3_S6_S3_S6_S3_S6_PS1_21rocsparse_index_base_S8_S8_S8_bb, .Lfunc_end65-_ZN9rocsparseL35csrgemm_symbolic_fill_block_per_rowILj1024ELj64ELj16384ELj137ELj64EllEEvT5_PKS1_S3_PKT4_S3_S6_S3_S6_S3_S6_PS1_21rocsparse_index_base_S8_S8_S8_bb
                                        ; -- End function
	.set _ZN9rocsparseL35csrgemm_symbolic_fill_block_per_rowILj1024ELj64ELj16384ELj137ELj64EllEEvT5_PKS1_S3_PKT4_S3_S6_S3_S6_S3_S6_PS1_21rocsparse_index_base_S8_S8_S8_bb.num_vgpr, 19
	.set _ZN9rocsparseL35csrgemm_symbolic_fill_block_per_rowILj1024ELj64ELj16384ELj137ELj64EllEEvT5_PKS1_S3_PKT4_S3_S6_S3_S6_S3_S6_PS1_21rocsparse_index_base_S8_S8_S8_bb.num_agpr, 0
	.set _ZN9rocsparseL35csrgemm_symbolic_fill_block_per_rowILj1024ELj64ELj16384ELj137ELj64EllEEvT5_PKS1_S3_PKT4_S3_S6_S3_S6_S3_S6_PS1_21rocsparse_index_base_S8_S8_S8_bb.numbered_sgpr, 44
	.set _ZN9rocsparseL35csrgemm_symbolic_fill_block_per_rowILj1024ELj64ELj16384ELj137ELj64EllEEvT5_PKS1_S3_PKT4_S3_S6_S3_S6_S3_S6_PS1_21rocsparse_index_base_S8_S8_S8_bb.num_named_barrier, 0
	.set _ZN9rocsparseL35csrgemm_symbolic_fill_block_per_rowILj1024ELj64ELj16384ELj137ELj64EllEEvT5_PKS1_S3_PKT4_S3_S6_S3_S6_S3_S6_PS1_21rocsparse_index_base_S8_S8_S8_bb.private_seg_size, 0
	.set _ZN9rocsparseL35csrgemm_symbolic_fill_block_per_rowILj1024ELj64ELj16384ELj137ELj64EllEEvT5_PKS1_S3_PKT4_S3_S6_S3_S6_S3_S6_PS1_21rocsparse_index_base_S8_S8_S8_bb.uses_vcc, 1
	.set _ZN9rocsparseL35csrgemm_symbolic_fill_block_per_rowILj1024ELj64ELj16384ELj137ELj64EllEEvT5_PKS1_S3_PKT4_S3_S6_S3_S6_S3_S6_PS1_21rocsparse_index_base_S8_S8_S8_bb.uses_flat_scratch, 0
	.set _ZN9rocsparseL35csrgemm_symbolic_fill_block_per_rowILj1024ELj64ELj16384ELj137ELj64EllEEvT5_PKS1_S3_PKT4_S3_S6_S3_S6_S3_S6_PS1_21rocsparse_index_base_S8_S8_S8_bb.has_dyn_sized_stack, 0
	.set _ZN9rocsparseL35csrgemm_symbolic_fill_block_per_rowILj1024ELj64ELj16384ELj137ELj64EllEEvT5_PKS1_S3_PKT4_S3_S6_S3_S6_S3_S6_PS1_21rocsparse_index_base_S8_S8_S8_bb.has_recursion, 0
	.set _ZN9rocsparseL35csrgemm_symbolic_fill_block_per_rowILj1024ELj64ELj16384ELj137ELj64EllEEvT5_PKS1_S3_PKT4_S3_S6_S3_S6_S3_S6_PS1_21rocsparse_index_base_S8_S8_S8_bb.has_indirect_call, 0
	.section	.AMDGPU.csdata,"",@progbits
; Kernel info:
; codeLenInByte = 2960
; TotalNumSgprs: 46
; NumVgprs: 19
; ScratchSize: 0
; MemoryBound: 0
; FloatMode: 240
; IeeeMode: 1
; LDSByteSize: 0 bytes/workgroup (compile time only)
; SGPRBlocks: 0
; VGPRBlocks: 1
; NumSGPRsForWavesPerEU: 46
; NumVGPRsForWavesPerEU: 19
; NamedBarCnt: 0
; Occupancy: 16
; WaveLimiterHint : 1
; COMPUTE_PGM_RSRC2:SCRATCH_EN: 0
; COMPUTE_PGM_RSRC2:USER_SGPR: 2
; COMPUTE_PGM_RSRC2:TRAP_HANDLER: 0
; COMPUTE_PGM_RSRC2:TGID_X_EN: 1
; COMPUTE_PGM_RSRC2:TGID_Y_EN: 0
; COMPUTE_PGM_RSRC2:TGID_Z_EN: 0
; COMPUTE_PGM_RSRC2:TIDIG_COMP_CNT: 0
	.section	.text._ZN9rocsparseL35csrgemm_symbolic_fill_block_per_rowILj1024ELj64ELj32768ELj137ELj32EllEEvT5_PKS1_S3_PKT4_S3_S6_S3_S6_S3_S6_PS1_21rocsparse_index_base_S8_S8_S8_bb,"axG",@progbits,_ZN9rocsparseL35csrgemm_symbolic_fill_block_per_rowILj1024ELj64ELj32768ELj137ELj32EllEEvT5_PKS1_S3_PKT4_S3_S6_S3_S6_S3_S6_PS1_21rocsparse_index_base_S8_S8_S8_bb,comdat
	.globl	_ZN9rocsparseL35csrgemm_symbolic_fill_block_per_rowILj1024ELj64ELj32768ELj137ELj32EllEEvT5_PKS1_S3_PKT4_S3_S6_S3_S6_S3_S6_PS1_21rocsparse_index_base_S8_S8_S8_bb ; -- Begin function _ZN9rocsparseL35csrgemm_symbolic_fill_block_per_rowILj1024ELj64ELj32768ELj137ELj32EllEEvT5_PKS1_S3_PKT4_S3_S6_S3_S6_S3_S6_PS1_21rocsparse_index_base_S8_S8_S8_bb
	.p2align	8
	.type	_ZN9rocsparseL35csrgemm_symbolic_fill_block_per_rowILj1024ELj64ELj32768ELj137ELj32EllEEvT5_PKS1_S3_PKT4_S3_S6_S3_S6_S3_S6_PS1_21rocsparse_index_base_S8_S8_S8_bb,@function
_ZN9rocsparseL35csrgemm_symbolic_fill_block_per_rowILj1024ELj64ELj32768ELj137ELj32EllEEvT5_PKS1_S3_PKT4_S3_S6_S3_S6_S3_S6_PS1_21rocsparse_index_base_S8_S8_S8_bb: ; @_ZN9rocsparseL35csrgemm_symbolic_fill_block_per_rowILj1024ELj64ELj32768ELj137ELj32EllEEvT5_PKS1_S3_PKT4_S3_S6_S3_S6_S3_S6_PS1_21rocsparse_index_base_S8_S8_S8_bb
; %bb.0:
	s_clause 0x3
	s_load_b256 s[36:43], s[0:1], 0x0
	s_load_b64 s[34:35], s[0:1], 0x50
	s_load_b128 s[48:51], s[0:1], 0x40
	s_load_b256 s[4:11], s[0:1], 0x20
	v_lshl_add_u32 v13, v0, 3, 0
	v_or_b32_e32 v16, 0xfffffc00, v0
	s_mov_b32 s2, 0
	s_delay_alu instid0(VALU_DEP_1)
	v_dual_mov_b32 v1, v13 :: v_dual_mov_b32 v4, v16
	s_wait_kmcnt 0x0
	v_mov_b64_e32 v[2:3], s[36:37]
.LBB66_1:                               ; =>This Inner Loop Header: Depth=1
	s_delay_alu instid0(VALU_DEP_2) | instskip(SKIP_4) | instid1(SALU_CYCLE_1)
	v_add_nc_u32_e32 v4, 0x400, v4
	ds_store_b64 v1, v[2:3]
	v_add_nc_u32_e32 v1, 0x2000, v1
	v_cmp_lt_u32_e32 vcc_lo, 0x7bff, v4
	s_or_b32 s2, vcc_lo, s2
	s_and_not1_b32 exec_lo, exec_lo, s2
	s_cbranch_execnz .LBB66_1
; %bb.2:
	s_or_b32 exec_lo, exec_lo, s2
	s_load_b32 s14, s[0:1], 0x68
	s_wait_dscnt 0x0
	s_barrier_signal -1
	s_barrier_wait -1
	s_load_b64 s[2:3], s[38:39], 0x0
	s_getreg_b32 s16, hwreg(HW_REG_IB_STS2, 6, 4)
	s_wait_kmcnt 0x0
	s_bitcmp1_b32 s14, 0
	s_cselect_b32 s12, -1, 0
	s_bfe_u32 s13, ttmp6, 0x4000c
	s_and_b32 s15, ttmp6, 15
	s_add_co_i32 s13, s13, 1
	s_lshl_b64 s[2:3], s[2:3], 3
	s_mul_i32 s13, ttmp9, s13
	s_add_nc_u64 s[2:3], s[40:41], s[2:3]
	s_add_co_i32 s15, s15, s13
	s_cmp_eq_u32 s16, 0
	s_cselect_b32 s13, ttmp9, s15
	s_load_b128 s[44:47], s[0:1], 0x58
	s_load_b64 s[38:39], s[2:3], s13 offset:0x0 scale_offset
	s_and_b32 vcc_lo, exec_lo, s12
	s_wait_xcnt 0x0
	s_mov_b32 s1, 0
	s_cbranch_vccz .LBB66_18
; %bb.3:
	s_wait_kmcnt 0x0
	s_lshl_b64 s[2:3], s[38:39], 3
	v_dual_mov_b32 v5, 0 :: v_dual_lshrrev_b32 v4, 6, v0
	s_add_nc_u64 s[2:3], s[42:43], s[2:3]
	s_mov_b32 s0, s44
	s_load_b128 s[16:19], s[2:3], 0x0
	s_mov_b32 s15, exec_lo
	v_sub_nc_u64_e64 v[2:3], v[4:5], s[0:1]
	s_wait_kmcnt 0x0
	s_delay_alu instid0(VALU_DEP_1)
	v_add_nc_u64_e32 v[2:3], s[16:17], v[2:3]
	s_sub_nc_u64 s[2:3], s[18:19], s[0:1]
	s_delay_alu instid0(VALU_DEP_1) | instid1(SALU_CYCLE_1)
	v_cmpx_gt_i64_e64 s[2:3], v[2:3]
	s_cbranch_execz .LBB66_17
; %bb.4:
	v_and_b32_e32 v4, 63, v0
	s_mov_b32 s13, 0
	s_mov_b32 s12, s45
	;; [unrolled: 1-line block ×3, first 2 shown]
	s_delay_alu instid0(VALU_DEP_1)
	v_sub_nc_u64_e64 v[4:5], v[4:5], s[12:13]
	s_branch .LBB66_6
.LBB66_5:                               ;   in Loop: Header=BB66_6 Depth=1
	s_or_b32 exec_lo, exec_lo, s17
	v_add_nc_u64_e32 v[2:3], 16, v[2:3]
	s_delay_alu instid0(VALU_DEP_1) | instskip(SKIP_1) | instid1(SALU_CYCLE_1)
	v_cmp_le_i64_e32 vcc_lo, s[2:3], v[2:3]
	s_or_b32 s16, vcc_lo, s16
	s_and_not1_b32 exec_lo, exec_lo, s16
	s_cbranch_execz .LBB66_17
.LBB66_6:                               ; =>This Loop Header: Depth=1
                                        ;     Child Loop BB66_9 Depth 2
                                        ;       Child Loop BB66_12 Depth 3
	v_lshl_add_u64 v[6:7], v[2:3], 3, s[4:5]
	s_mov_b32 s17, exec_lo
	global_load_b64 v[6:7], v[6:7], off
	s_wait_loadcnt 0x0
	v_sub_nc_u64_e64 v[6:7], v[6:7], s[0:1]
	s_delay_alu instid0(VALU_DEP_1) | instskip(SKIP_4) | instid1(VALU_DEP_1)
	v_lshl_add_u64 v[6:7], v[6:7], 3, s[6:7]
	global_load_b128 v[8:11], v[6:7], off
	s_wait_loadcnt 0x0
	v_sub_nc_u64_e64 v[6:7], v[10:11], s[12:13]
	v_add_nc_u64_e32 v[8:9], v[8:9], v[4:5]
	v_cmpx_lt_i64_e64 v[8:9], v[6:7]
	s_cbranch_execz .LBB66_5
; %bb.7:                                ;   in Loop: Header=BB66_6 Depth=1
	s_mov_b32 s18, 0
	s_branch .LBB66_9
.LBB66_8:                               ;   in Loop: Header=BB66_9 Depth=2
	s_or_b32 exec_lo, exec_lo, s19
	v_add_nc_u64_e32 v[8:9], 64, v[8:9]
	s_delay_alu instid0(VALU_DEP_1) | instskip(SKIP_1) | instid1(SALU_CYCLE_1)
	v_cmp_ge_i64_e32 vcc_lo, v[8:9], v[6:7]
	s_or_b32 s18, vcc_lo, s18
	s_and_not1_b32 exec_lo, exec_lo, s18
	s_cbranch_execz .LBB66_5
.LBB66_9:                               ;   Parent Loop BB66_6 Depth=1
                                        ; =>  This Loop Header: Depth=2
                                        ;       Child Loop BB66_12 Depth 3
	v_lshl_add_u64 v[10:11], v[8:9], 3, s[8:9]
	s_mov_b32 s19, 0
                                        ; implicit-def: $sgpr20
	global_load_b64 v[10:11], v[10:11], off
	s_wait_loadcnt 0x0
	v_sub_nc_u64_e64 v[10:11], v[10:11], s[12:13]
	s_delay_alu instid0(VALU_DEP_1) | instskip(NEXT) | instid1(VALU_DEP_1)
	v_mul_lo_u32 v1, 0x89, v10
	v_and_b32_e32 v12, 0x7fff, v1
	s_branch .LBB66_12
.LBB66_10:                              ;   in Loop: Header=BB66_12 Depth=3
	s_or_b32 exec_lo, exec_lo, s22
	s_delay_alu instid0(SALU_CYCLE_1) | instskip(SKIP_1) | instid1(SALU_CYCLE_1)
	s_and_not1_b32 s20, s20, exec_lo
	s_and_b32 s22, s23, exec_lo
	s_or_b32 s20, s20, s22
.LBB66_11:                              ;   in Loop: Header=BB66_12 Depth=3
	s_or_b32 exec_lo, exec_lo, s21
	s_xor_b32 s21, s20, -1
	s_delay_alu instid0(SALU_CYCLE_1) | instskip(NEXT) | instid1(SALU_CYCLE_1)
	s_and_b32 s21, exec_lo, s21
	s_or_b32 s19, s21, s19
	s_delay_alu instid0(SALU_CYCLE_1)
	s_and_not1_b32 exec_lo, exec_lo, s19
	s_cbranch_execz .LBB66_8
.LBB66_12:                              ;   Parent Loop BB66_6 Depth=1
                                        ;     Parent Loop BB66_9 Depth=2
                                        ; =>    This Inner Loop Header: Depth=3
	s_delay_alu instid0(VALU_DEP_1)
	v_lshl_add_u32 v1, v12, 3, 0
	s_and_not1_b32 s20, s20, exec_lo
	s_mov_b32 s21, exec_lo
	ds_load_b64 v[14:15], v1
	s_wait_dscnt 0x0
	v_cmpx_ne_u64_e64 v[14:15], v[10:11]
	s_cbranch_execz .LBB66_11
; %bb.13:                               ;   in Loop: Header=BB66_12 Depth=3
	s_mov_b32 s22, exec_lo
	v_cmpx_ne_u64_e64 s[36:37], v[14:15]
	s_xor_b32 s22, exec_lo, s22
; %bb.14:                               ;   in Loop: Header=BB66_12 Depth=3
	v_add_nc_u32_e32 v1, 1, v12
	s_delay_alu instid0(VALU_DEP_1)
	v_and_b32_e32 v12, 0x7fff, v1
                                        ; implicit-def: $vgpr1
; %bb.15:                               ;   in Loop: Header=BB66_12 Depth=3
	s_or_saveexec_b32 s22, s22
	s_mov_b32 s23, -1
	s_xor_b32 exec_lo, exec_lo, s22
	s_cbranch_execz .LBB66_10
; %bb.16:                               ;   in Loop: Header=BB66_12 Depth=3
	v_mov_b64_e32 v[14:15], s[36:37]
	ds_cmpstore_rtn_b64 v[14:15], v1, v[10:11], v[14:15]
	s_wait_dscnt 0x0
	v_cmp_ne_u64_e32 vcc_lo, s[36:37], v[14:15]
	s_or_not1_b32 s23, vcc_lo, exec_lo
	s_branch .LBB66_10
.LBB66_17:
	s_or_b32 exec_lo, exec_lo, s15
.LBB66_18:
	s_bfe_u32 s0, s14, 0x10008
	s_delay_alu instid0(SALU_CYCLE_1)
	s_cmp_eq_u32 s0, 0
	s_cbranch_scc1 .LBB66_31
; %bb.19:
	s_wait_kmcnt 0x0
	s_lshl_b64 s[0:1], s[38:39], 3
	v_mov_b32_e32 v1, 0
	s_add_nc_u64 s[0:1], s[10:11], s[0:1]
	s_load_b128 s[4:7], s[0:1], 0x0
	s_wait_xcnt 0x0
	s_mov_b32 s1, 0
	s_mov_b32 s0, s47
	s_delay_alu instid0(SALU_CYCLE_1) | instskip(SKIP_1) | instid1(VALU_DEP_1)
	v_sub_nc_u64_e64 v[2:3], v[0:1], s[0:1]
	s_wait_kmcnt 0x0
	v_add_nc_u64_e32 v[2:3], s[4:5], v[2:3]
	s_sub_nc_u64 s[2:3], s[6:7], s[0:1]
	s_mov_b32 s4, exec_lo
	s_delay_alu instid0(VALU_DEP_1)
	v_cmpx_gt_i64_e64 s[2:3], v[2:3]
	s_cbranch_execz .LBB66_30
; %bb.20:
	s_mov_b32 s5, s1
	s_branch .LBB66_22
.LBB66_21:                              ;   in Loop: Header=BB66_22 Depth=1
	s_or_b32 exec_lo, exec_lo, s6
	v_add_nc_u64_e32 v[2:3], 0x400, v[2:3]
	s_delay_alu instid0(VALU_DEP_1) | instskip(SKIP_1) | instid1(SALU_CYCLE_1)
	v_cmp_le_i64_e32 vcc_lo, s[2:3], v[2:3]
	s_or_b32 s5, vcc_lo, s5
	s_and_not1_b32 exec_lo, exec_lo, s5
	s_cbranch_execz .LBB66_30
.LBB66_22:                              ; =>This Loop Header: Depth=1
                                        ;     Child Loop BB66_25 Depth 2
	v_lshl_add_u64 v[4:5], v[2:3], 3, s[48:49]
	s_mov_b32 s6, 0
                                        ; implicit-def: $sgpr7
	global_load_b64 v[4:5], v[4:5], off
	s_wait_loadcnt 0x0
	v_sub_nc_u64_e64 v[4:5], v[4:5], s[0:1]
	s_delay_alu instid0(VALU_DEP_1) | instskip(NEXT) | instid1(VALU_DEP_1)
	v_mul_lo_u32 v1, 0x89, v4
	v_and_b32_e32 v6, 0x7fff, v1
	s_branch .LBB66_25
.LBB66_23:                              ;   in Loop: Header=BB66_25 Depth=2
	s_or_b32 exec_lo, exec_lo, s9
	s_delay_alu instid0(SALU_CYCLE_1) | instskip(SKIP_1) | instid1(SALU_CYCLE_1)
	s_and_not1_b32 s7, s7, exec_lo
	s_and_b32 s9, s10, exec_lo
	s_or_b32 s7, s7, s9
.LBB66_24:                              ;   in Loop: Header=BB66_25 Depth=2
	s_or_b32 exec_lo, exec_lo, s8
	s_xor_b32 s8, s7, -1
	s_delay_alu instid0(SALU_CYCLE_1) | instskip(NEXT) | instid1(SALU_CYCLE_1)
	s_and_b32 s8, exec_lo, s8
	s_or_b32 s6, s8, s6
	s_delay_alu instid0(SALU_CYCLE_1)
	s_and_not1_b32 exec_lo, exec_lo, s6
	s_cbranch_execz .LBB66_21
.LBB66_25:                              ;   Parent Loop BB66_22 Depth=1
                                        ; =>  This Inner Loop Header: Depth=2
	s_delay_alu instid0(VALU_DEP_1)
	v_lshl_add_u32 v1, v6, 3, 0
	s_and_not1_b32 s7, s7, exec_lo
	s_mov_b32 s8, exec_lo
	ds_load_b64 v[8:9], v1
	s_wait_dscnt 0x0
	v_cmpx_ne_u64_e64 v[8:9], v[4:5]
	s_cbranch_execz .LBB66_24
; %bb.26:                               ;   in Loop: Header=BB66_25 Depth=2
	s_mov_b32 s9, exec_lo
	v_cmpx_ne_u64_e64 s[36:37], v[8:9]
	s_xor_b32 s9, exec_lo, s9
; %bb.27:                               ;   in Loop: Header=BB66_25 Depth=2
	v_add_nc_u32_e32 v1, 1, v6
	s_delay_alu instid0(VALU_DEP_1)
	v_and_b32_e32 v6, 0x7fff, v1
                                        ; implicit-def: $vgpr1
; %bb.28:                               ;   in Loop: Header=BB66_25 Depth=2
	s_or_saveexec_b32 s9, s9
	s_mov_b32 s10, -1
	s_xor_b32 exec_lo, exec_lo, s9
	s_cbranch_execz .LBB66_23
; %bb.29:                               ;   in Loop: Header=BB66_25 Depth=2
	v_mov_b64_e32 v[8:9], s[36:37]
	ds_cmpstore_rtn_b64 v[8:9], v1, v[4:5], v[8:9]
	s_wait_dscnt 0x0
	v_cmp_ne_u64_e32 vcc_lo, s[36:37], v[8:9]
	s_or_not1_b32 s10, vcc_lo, exec_lo
	s_branch .LBB66_23
.LBB66_30:
	s_or_b32 exec_lo, exec_lo, s4
.LBB66_31:
	v_mbcnt_lo_u32_b32 v1, -1, 0
	v_lshrrev_b32_e32 v2, 2, v0
	v_mov_b64_e32 v[6:7], 0
	v_mov_b32_e32 v3, 0
	v_cmp_lt_u32_e64 s0, 31, v0
	v_xor_b32_e32 v1, 31, v1
	v_and_b32_e32 v2, 0xf8, v2
	v_cmp_lt_u32_e64 s1, 63, v0
	v_cmp_lt_u32_e64 s2, 0x5f, v0
	v_cmp_lt_u32_e64 s3, 0x7f, v0
	v_lshrrev_b32_e64 v4, v1, -1
	v_add3_u32 v1, 0x40000, 0, v2
	v_cmp_lt_u32_e64 s4, 0x9f, v0
	v_cmp_lt_u32_e64 s5, 0xbf, v0
	;; [unrolled: 1-line block ×27, first 2 shown]
	s_mov_b32 s33, 0
	s_add_co_i32 s40, 0, 0x40000
	s_add_co_i32 s41, 0, 0x40008
	;; [unrolled: 1-line block ×4, first 2 shown]
	s_wait_kmcnt 0x0
	s_add_co_i32 s44, 0, 0x40020
	s_add_co_i32 s45, 0, 0x40028
	;; [unrolled: 1-line block ×28, first 2 shown]
	s_barrier_signal -1
	s_barrier_wait -1
	v_cmp_eq_u32_e32 vcc_lo, 0x3ff, v0
	s_branch .LBB66_33
.LBB66_32:                              ;   in Loop: Header=BB66_33 Depth=1
	s_or_b32 exec_lo, exec_lo, s31
	v_dual_mov_b32 v2, s74 :: v_dual_add_nc_u32 v13, 0x2000, v13
	s_wait_dscnt 0x0
	s_barrier_signal -1
	s_barrier_wait -1
	ds_load_b64 v[8:9], v2
	v_add_nc_u32_e32 v16, 0x400, v16
	s_delay_alu instid0(VALU_DEP_1)
	v_cmp_lt_u32_e64 s31, 0x7bff, v16
	s_or_b32 s33, s31, s33
	s_wait_dscnt 0x0
	v_add_nc_u64_e32 v[6:7], v[8:9], v[6:7]
	s_and_not1_b32 exec_lo, exec_lo, s33
	s_cbranch_execz .LBB66_99
.LBB66_33:                              ; =>This Inner Loop Header: Depth=1
	ds_load_b64 v[8:9], v13
	s_wait_dscnt 0x0
	s_barrier_signal -1
	s_barrier_wait -1
	v_cmp_gt_i64_e64 s31, s[36:37], v[8:9]
	s_bcnt1_i32_b32 s75, s31
	s_delay_alu instid0(SALU_CYCLE_1) | instskip(NEXT) | instid1(VALU_DEP_1)
	v_dual_mov_b32 v2, s75 :: v_dual_bitop2_b32 v5, s31, v4 bitop3:0x40
	v_bcnt_u32_b32 v10, v5, 0
	ds_store_b64 v1, v[2:3]
	s_wait_dscnt 0x0
	s_barrier_signal -1
	s_barrier_wait -1
	s_and_saveexec_b32 s75, s0
	s_cbranch_execnz .LBB66_66
; %bb.34:                               ;   in Loop: Header=BB66_33 Depth=1
	s_or_b32 exec_lo, exec_lo, s75
	s_and_saveexec_b32 s75, s1
	s_cbranch_execnz .LBB66_67
.LBB66_35:                              ;   in Loop: Header=BB66_33 Depth=1
	s_or_b32 exec_lo, exec_lo, s75
	s_and_saveexec_b32 s75, s2
	s_cbranch_execnz .LBB66_68
.LBB66_36:                              ;   in Loop: Header=BB66_33 Depth=1
	s_or_b32 exec_lo, exec_lo, s75
	s_and_saveexec_b32 s75, s3
	s_cbranch_execnz .LBB66_69
.LBB66_37:                              ;   in Loop: Header=BB66_33 Depth=1
	s_or_b32 exec_lo, exec_lo, s75
	s_and_saveexec_b32 s75, s4
	s_cbranch_execnz .LBB66_70
.LBB66_38:                              ;   in Loop: Header=BB66_33 Depth=1
	s_or_b32 exec_lo, exec_lo, s75
	s_and_saveexec_b32 s75, s5
	s_cbranch_execnz .LBB66_71
.LBB66_39:                              ;   in Loop: Header=BB66_33 Depth=1
	s_or_b32 exec_lo, exec_lo, s75
	s_and_saveexec_b32 s75, s6
	s_cbranch_execnz .LBB66_72
.LBB66_40:                              ;   in Loop: Header=BB66_33 Depth=1
	s_or_b32 exec_lo, exec_lo, s75
	s_and_saveexec_b32 s75, s7
	s_cbranch_execnz .LBB66_73
.LBB66_41:                              ;   in Loop: Header=BB66_33 Depth=1
	s_or_b32 exec_lo, exec_lo, s75
	s_and_saveexec_b32 s75, s8
	s_cbranch_execnz .LBB66_74
.LBB66_42:                              ;   in Loop: Header=BB66_33 Depth=1
	s_or_b32 exec_lo, exec_lo, s75
	s_and_saveexec_b32 s75, s9
	s_cbranch_execnz .LBB66_75
.LBB66_43:                              ;   in Loop: Header=BB66_33 Depth=1
	s_or_b32 exec_lo, exec_lo, s75
	s_and_saveexec_b32 s75, s10
	s_cbranch_execnz .LBB66_76
.LBB66_44:                              ;   in Loop: Header=BB66_33 Depth=1
	s_or_b32 exec_lo, exec_lo, s75
	s_and_saveexec_b32 s75, s11
	s_cbranch_execnz .LBB66_77
.LBB66_45:                              ;   in Loop: Header=BB66_33 Depth=1
	s_or_b32 exec_lo, exec_lo, s75
	s_and_saveexec_b32 s75, s12
	s_cbranch_execnz .LBB66_78
.LBB66_46:                              ;   in Loop: Header=BB66_33 Depth=1
	s_or_b32 exec_lo, exec_lo, s75
	s_and_saveexec_b32 s75, s13
	s_cbranch_execnz .LBB66_79
.LBB66_47:                              ;   in Loop: Header=BB66_33 Depth=1
	s_or_b32 exec_lo, exec_lo, s75
	s_and_saveexec_b32 s75, s14
	s_cbranch_execnz .LBB66_80
.LBB66_48:                              ;   in Loop: Header=BB66_33 Depth=1
	s_or_b32 exec_lo, exec_lo, s75
	s_and_saveexec_b32 s75, s15
	s_cbranch_execnz .LBB66_81
.LBB66_49:                              ;   in Loop: Header=BB66_33 Depth=1
	s_or_b32 exec_lo, exec_lo, s75
	s_and_saveexec_b32 s75, s16
	s_cbranch_execnz .LBB66_82
.LBB66_50:                              ;   in Loop: Header=BB66_33 Depth=1
	s_or_b32 exec_lo, exec_lo, s75
	s_and_saveexec_b32 s75, s17
	s_cbranch_execnz .LBB66_83
.LBB66_51:                              ;   in Loop: Header=BB66_33 Depth=1
	s_or_b32 exec_lo, exec_lo, s75
	s_and_saveexec_b32 s75, s18
	s_cbranch_execnz .LBB66_84
.LBB66_52:                              ;   in Loop: Header=BB66_33 Depth=1
	s_or_b32 exec_lo, exec_lo, s75
	s_and_saveexec_b32 s75, s19
	s_cbranch_execnz .LBB66_85
.LBB66_53:                              ;   in Loop: Header=BB66_33 Depth=1
	s_or_b32 exec_lo, exec_lo, s75
	s_and_saveexec_b32 s75, s20
	s_cbranch_execnz .LBB66_86
.LBB66_54:                              ;   in Loop: Header=BB66_33 Depth=1
	s_or_b32 exec_lo, exec_lo, s75
	s_and_saveexec_b32 s75, s21
	s_cbranch_execnz .LBB66_87
.LBB66_55:                              ;   in Loop: Header=BB66_33 Depth=1
	s_or_b32 exec_lo, exec_lo, s75
	s_and_saveexec_b32 s75, s22
	s_cbranch_execnz .LBB66_88
.LBB66_56:                              ;   in Loop: Header=BB66_33 Depth=1
	s_or_b32 exec_lo, exec_lo, s75
	s_and_saveexec_b32 s75, s23
	s_cbranch_execnz .LBB66_89
.LBB66_57:                              ;   in Loop: Header=BB66_33 Depth=1
	s_or_b32 exec_lo, exec_lo, s75
	s_and_saveexec_b32 s75, s24
	s_cbranch_execnz .LBB66_90
.LBB66_58:                              ;   in Loop: Header=BB66_33 Depth=1
	s_or_b32 exec_lo, exec_lo, s75
	s_and_saveexec_b32 s75, s25
	s_cbranch_execnz .LBB66_91
.LBB66_59:                              ;   in Loop: Header=BB66_33 Depth=1
	s_or_b32 exec_lo, exec_lo, s75
	s_and_saveexec_b32 s75, s26
	s_cbranch_execnz .LBB66_92
.LBB66_60:                              ;   in Loop: Header=BB66_33 Depth=1
	s_or_b32 exec_lo, exec_lo, s75
	s_and_saveexec_b32 s75, s27
	s_cbranch_execnz .LBB66_93
.LBB66_61:                              ;   in Loop: Header=BB66_33 Depth=1
	s_or_b32 exec_lo, exec_lo, s75
	s_and_saveexec_b32 s75, s28
	s_cbranch_execnz .LBB66_94
.LBB66_62:                              ;   in Loop: Header=BB66_33 Depth=1
	s_or_b32 exec_lo, exec_lo, s75
	s_and_saveexec_b32 s75, s29
	s_cbranch_execnz .LBB66_95
.LBB66_63:                              ;   in Loop: Header=BB66_33 Depth=1
	s_or_b32 exec_lo, exec_lo, s75
	s_and_saveexec_b32 s75, s30
	s_cbranch_execnz .LBB66_96
.LBB66_64:                              ;   in Loop: Header=BB66_33 Depth=1
	s_or_b32 exec_lo, exec_lo, s75
	v_ashrrev_i32_e32 v11, 31, v10
	s_and_saveexec_b32 s75, s31
	s_cbranch_execnz .LBB66_97
.LBB66_65:                              ;   in Loop: Header=BB66_33 Depth=1
	s_or_b32 exec_lo, exec_lo, s75
	s_and_saveexec_b32 s31, vcc_lo
	s_cbranch_execz .LBB66_32
	s_branch .LBB66_98
.LBB66_66:                              ;   in Loop: Header=BB66_33 Depth=1
	v_mov_b32_e32 v2, s40
	ds_load_b32 v2, v2
	s_wait_dscnt 0x0
	v_add_nc_u32_e32 v10, v2, v10
	s_or_b32 exec_lo, exec_lo, s75
	s_and_saveexec_b32 s75, s1
	s_cbranch_execz .LBB66_35
.LBB66_67:                              ;   in Loop: Header=BB66_33 Depth=1
	v_mov_b32_e32 v2, s41
	ds_load_b32 v2, v2
	s_wait_dscnt 0x0
	v_add_nc_u32_e32 v10, v10, v2
	s_or_b32 exec_lo, exec_lo, s75
	s_and_saveexec_b32 s75, s2
	s_cbranch_execz .LBB66_36
.LBB66_68:                              ;   in Loop: Header=BB66_33 Depth=1
	v_mov_b32_e32 v2, s42
	ds_load_b32 v2, v2
	s_wait_dscnt 0x0
	v_add_nc_u32_e32 v10, v10, v2
	s_or_b32 exec_lo, exec_lo, s75
	s_and_saveexec_b32 s75, s3
	s_cbranch_execz .LBB66_37
.LBB66_69:                              ;   in Loop: Header=BB66_33 Depth=1
	v_mov_b32_e32 v2, s43
	ds_load_b32 v2, v2
	s_wait_dscnt 0x0
	v_add_nc_u32_e32 v10, v10, v2
	s_or_b32 exec_lo, exec_lo, s75
	s_and_saveexec_b32 s75, s4
	s_cbranch_execz .LBB66_38
.LBB66_70:                              ;   in Loop: Header=BB66_33 Depth=1
	v_mov_b32_e32 v2, s44
	ds_load_b32 v2, v2
	s_wait_dscnt 0x0
	v_add_nc_u32_e32 v10, v10, v2
	s_or_b32 exec_lo, exec_lo, s75
	s_and_saveexec_b32 s75, s5
	s_cbranch_execz .LBB66_39
.LBB66_71:                              ;   in Loop: Header=BB66_33 Depth=1
	v_mov_b32_e32 v2, s45
	ds_load_b32 v2, v2
	s_wait_dscnt 0x0
	v_add_nc_u32_e32 v10, v10, v2
	s_or_b32 exec_lo, exec_lo, s75
	s_and_saveexec_b32 s75, s6
	s_cbranch_execz .LBB66_40
.LBB66_72:                              ;   in Loop: Header=BB66_33 Depth=1
	v_mov_b32_e32 v2, s47
	ds_load_b32 v2, v2
	s_wait_dscnt 0x0
	v_add_nc_u32_e32 v10, v10, v2
	s_or_b32 exec_lo, exec_lo, s75
	s_and_saveexec_b32 s75, s7
	s_cbranch_execz .LBB66_41
.LBB66_73:                              ;   in Loop: Header=BB66_33 Depth=1
	v_mov_b32_e32 v2, s48
	ds_load_b32 v2, v2
	s_wait_dscnt 0x0
	v_add_nc_u32_e32 v10, v10, v2
	s_or_b32 exec_lo, exec_lo, s75
	s_and_saveexec_b32 s75, s8
	s_cbranch_execz .LBB66_42
.LBB66_74:                              ;   in Loop: Header=BB66_33 Depth=1
	v_mov_b32_e32 v2, s49
	ds_load_b32 v2, v2
	s_wait_dscnt 0x0
	v_add_nc_u32_e32 v10, v10, v2
	s_or_b32 exec_lo, exec_lo, s75
	s_and_saveexec_b32 s75, s9
	s_cbranch_execz .LBB66_43
.LBB66_75:                              ;   in Loop: Header=BB66_33 Depth=1
	v_mov_b32_e32 v2, s52
	ds_load_b32 v2, v2
	s_wait_dscnt 0x0
	v_add_nc_u32_e32 v10, v10, v2
	s_or_b32 exec_lo, exec_lo, s75
	s_and_saveexec_b32 s75, s10
	s_cbranch_execz .LBB66_44
.LBB66_76:                              ;   in Loop: Header=BB66_33 Depth=1
	v_mov_b32_e32 v2, s53
	ds_load_b32 v2, v2
	s_wait_dscnt 0x0
	v_add_nc_u32_e32 v10, v10, v2
	s_or_b32 exec_lo, exec_lo, s75
	s_and_saveexec_b32 s75, s11
	s_cbranch_execz .LBB66_45
.LBB66_77:                              ;   in Loop: Header=BB66_33 Depth=1
	v_mov_b32_e32 v2, s54
	ds_load_b32 v2, v2
	s_wait_dscnt 0x0
	v_add_nc_u32_e32 v10, v10, v2
	s_or_b32 exec_lo, exec_lo, s75
	s_and_saveexec_b32 s75, s12
	s_cbranch_execz .LBB66_46
.LBB66_78:                              ;   in Loop: Header=BB66_33 Depth=1
	v_mov_b32_e32 v2, s55
	ds_load_b32 v2, v2
	s_wait_dscnt 0x0
	v_add_nc_u32_e32 v10, v10, v2
	s_or_b32 exec_lo, exec_lo, s75
	s_and_saveexec_b32 s75, s13
	s_cbranch_execz .LBB66_47
.LBB66_79:                              ;   in Loop: Header=BB66_33 Depth=1
	v_mov_b32_e32 v2, s56
	ds_load_b32 v2, v2
	s_wait_dscnt 0x0
	v_add_nc_u32_e32 v10, v10, v2
	s_or_b32 exec_lo, exec_lo, s75
	s_and_saveexec_b32 s75, s14
	s_cbranch_execz .LBB66_48
.LBB66_80:                              ;   in Loop: Header=BB66_33 Depth=1
	v_mov_b32_e32 v2, s57
	ds_load_b32 v2, v2
	s_wait_dscnt 0x0
	v_add_nc_u32_e32 v10, v10, v2
	s_or_b32 exec_lo, exec_lo, s75
	s_and_saveexec_b32 s75, s15
	s_cbranch_execz .LBB66_49
.LBB66_81:                              ;   in Loop: Header=BB66_33 Depth=1
	v_mov_b32_e32 v2, s58
	ds_load_b32 v2, v2
	s_wait_dscnt 0x0
	v_add_nc_u32_e32 v10, v10, v2
	s_or_b32 exec_lo, exec_lo, s75
	s_and_saveexec_b32 s75, s16
	s_cbranch_execz .LBB66_50
.LBB66_82:                              ;   in Loop: Header=BB66_33 Depth=1
	v_mov_b32_e32 v2, s59
	ds_load_b32 v2, v2
	s_wait_dscnt 0x0
	v_add_nc_u32_e32 v10, v10, v2
	s_or_b32 exec_lo, exec_lo, s75
	s_and_saveexec_b32 s75, s17
	s_cbranch_execz .LBB66_51
.LBB66_83:                              ;   in Loop: Header=BB66_33 Depth=1
	v_mov_b32_e32 v2, s60
	ds_load_b32 v2, v2
	s_wait_dscnt 0x0
	v_add_nc_u32_e32 v10, v10, v2
	s_or_b32 exec_lo, exec_lo, s75
	s_and_saveexec_b32 s75, s18
	s_cbranch_execz .LBB66_52
.LBB66_84:                              ;   in Loop: Header=BB66_33 Depth=1
	v_mov_b32_e32 v2, s61
	ds_load_b32 v2, v2
	s_wait_dscnt 0x0
	v_add_nc_u32_e32 v10, v10, v2
	s_or_b32 exec_lo, exec_lo, s75
	s_and_saveexec_b32 s75, s19
	s_cbranch_execz .LBB66_53
.LBB66_85:                              ;   in Loop: Header=BB66_33 Depth=1
	v_mov_b32_e32 v2, s62
	ds_load_b32 v2, v2
	s_wait_dscnt 0x0
	v_add_nc_u32_e32 v10, v10, v2
	s_or_b32 exec_lo, exec_lo, s75
	s_and_saveexec_b32 s75, s20
	s_cbranch_execz .LBB66_54
.LBB66_86:                              ;   in Loop: Header=BB66_33 Depth=1
	v_mov_b32_e32 v2, s63
	ds_load_b32 v2, v2
	s_wait_dscnt 0x0
	v_add_nc_u32_e32 v10, v10, v2
	s_or_b32 exec_lo, exec_lo, s75
	s_and_saveexec_b32 s75, s21
	s_cbranch_execz .LBB66_55
.LBB66_87:                              ;   in Loop: Header=BB66_33 Depth=1
	v_mov_b32_e32 v2, s64
	ds_load_b32 v2, v2
	s_wait_dscnt 0x0
	v_add_nc_u32_e32 v10, v10, v2
	s_or_b32 exec_lo, exec_lo, s75
	s_and_saveexec_b32 s75, s22
	s_cbranch_execz .LBB66_56
.LBB66_88:                              ;   in Loop: Header=BB66_33 Depth=1
	v_mov_b32_e32 v2, s65
	ds_load_b32 v2, v2
	s_wait_dscnt 0x0
	v_add_nc_u32_e32 v10, v10, v2
	s_or_b32 exec_lo, exec_lo, s75
	s_and_saveexec_b32 s75, s23
	s_cbranch_execz .LBB66_57
.LBB66_89:                              ;   in Loop: Header=BB66_33 Depth=1
	v_mov_b32_e32 v2, s66
	ds_load_b32 v2, v2
	s_wait_dscnt 0x0
	v_add_nc_u32_e32 v10, v10, v2
	s_or_b32 exec_lo, exec_lo, s75
	s_and_saveexec_b32 s75, s24
	s_cbranch_execz .LBB66_58
.LBB66_90:                              ;   in Loop: Header=BB66_33 Depth=1
	v_mov_b32_e32 v2, s67
	ds_load_b32 v2, v2
	s_wait_dscnt 0x0
	v_add_nc_u32_e32 v10, v10, v2
	s_or_b32 exec_lo, exec_lo, s75
	s_and_saveexec_b32 s75, s25
	s_cbranch_execz .LBB66_59
.LBB66_91:                              ;   in Loop: Header=BB66_33 Depth=1
	v_mov_b32_e32 v2, s68
	ds_load_b32 v2, v2
	s_wait_dscnt 0x0
	v_add_nc_u32_e32 v10, v10, v2
	s_or_b32 exec_lo, exec_lo, s75
	s_and_saveexec_b32 s75, s26
	s_cbranch_execz .LBB66_60
.LBB66_92:                              ;   in Loop: Header=BB66_33 Depth=1
	v_mov_b32_e32 v2, s69
	ds_load_b32 v2, v2
	s_wait_dscnt 0x0
	v_add_nc_u32_e32 v10, v10, v2
	s_or_b32 exec_lo, exec_lo, s75
	s_and_saveexec_b32 s75, s27
	s_cbranch_execz .LBB66_61
.LBB66_93:                              ;   in Loop: Header=BB66_33 Depth=1
	v_mov_b32_e32 v2, s70
	ds_load_b32 v2, v2
	s_wait_dscnt 0x0
	v_add_nc_u32_e32 v10, v10, v2
	s_or_b32 exec_lo, exec_lo, s75
	s_and_saveexec_b32 s75, s28
	s_cbranch_execz .LBB66_62
.LBB66_94:                              ;   in Loop: Header=BB66_33 Depth=1
	v_mov_b32_e32 v2, s71
	ds_load_b32 v2, v2
	s_wait_dscnt 0x0
	v_add_nc_u32_e32 v10, v10, v2
	s_or_b32 exec_lo, exec_lo, s75
	s_and_saveexec_b32 s75, s29
	s_cbranch_execz .LBB66_63
.LBB66_95:                              ;   in Loop: Header=BB66_33 Depth=1
	v_mov_b32_e32 v2, s72
	ds_load_b32 v2, v2
	s_wait_dscnt 0x0
	v_add_nc_u32_e32 v10, v10, v2
	s_or_b32 exec_lo, exec_lo, s75
	s_and_saveexec_b32 s75, s30
	s_cbranch_execz .LBB66_64
.LBB66_96:                              ;   in Loop: Header=BB66_33 Depth=1
	v_mov_b32_e32 v2, s73
	ds_load_b32 v2, v2
	s_wait_dscnt 0x0
	v_add_nc_u32_e32 v10, v10, v2
	s_or_b32 exec_lo, exec_lo, s75
	s_delay_alu instid0(VALU_DEP_1)
	v_ashrrev_i32_e32 v11, 31, v10
	s_and_saveexec_b32 s75, s31
	s_cbranch_execz .LBB66_65
.LBB66_97:                              ;   in Loop: Header=BB66_33 Depth=1
	v_lshlrev_b32_e32 v2, 3, v6
	v_lshlrev_b32_e32 v5, 3, v10
	s_delay_alu instid0(VALU_DEP_2) | instskip(NEXT) | instid1(VALU_DEP_1)
	v_add_nc_u32_e32 v2, 0, v2
	v_add3_u32 v2, v2, v5, -8
	ds_store_b64 v2, v[8:9]
	s_or_b32 exec_lo, exec_lo, s75
	s_and_saveexec_b32 s31, vcc_lo
	s_cbranch_execz .LBB66_32
.LBB66_98:                              ;   in Loop: Header=BB66_33 Depth=1
	v_mov_b32_e32 v2, s74
	ds_store_b64 v2, v[10:11]
	s_branch .LBB66_32
.LBB66_99:
	s_or_b32 exec_lo, exec_lo, s33
	s_lshl_b64 s[0:1], s[38:39], 3
	v_mov_b32_e32 v1, 0
	s_add_nc_u64 s[4:5], s[50:51], s[0:1]
	s_mov_b32 s6, exec_lo
	s_load_b128 s[0:3], s[4:5], 0x0
	s_wait_kmcnt 0x0
	s_sub_nc_u64 s[4:5], s[2:3], s[0:1]
	s_delay_alu instid0(SALU_CYCLE_1)
	v_cmpx_gt_i64_e64 s[4:5], v[0:1]
	s_cbranch_execz .LBB66_109
; %bb.100:
	s_sub_nc_u64 s[8:9], s[0:1], s[2:3]
	s_and_b64 s[6:7], s[4:5], 7
	v_cmp_lt_u64_e64 s10, s[8:9], -7
	s_and_b64 s[2:3], s[4:5], -8
	s_mov_b32 s47, 0
	s_cmp_lg_u64 s[6:7], 0
	s_sub_nc_u64 s[0:1], s[0:1], s[46:47]
	s_cselect_b32 s11, -1, 0
	s_mov_b32 s12, s47
	s_branch .LBB66_102
.LBB66_101:                             ;   in Loop: Header=BB66_102 Depth=1
	v_add_nc_u64_e32 v[0:1], 0x400, v[0:1]
	s_wait_dscnt 0x0
	v_add_nc_u64_e32 v[2:3], s[46:47], v[2:3]
	s_delay_alu instid0(VALU_DEP_3) | instskip(NEXT) | instid1(VALU_DEP_3)
	v_lshl_add_u64 v[4:5], v[4:5], 3, s[34:35]
	v_cmp_le_i64_e32 vcc_lo, s[4:5], v[0:1]
	global_store_b64 v[4:5], v[2:3], off
	s_or_b32 s12, vcc_lo, s12
	s_wait_xcnt 0x0
	s_and_not1_b32 exec_lo, exec_lo, s12
	s_cbranch_execz .LBB66_109
.LBB66_102:                             ; =>This Loop Header: Depth=1
                                        ;     Child Loop BB66_104 Depth 2
                                        ;     Child Loop BB66_108 Depth 2
	v_lshl_add_u32 v2, v0, 3, 0
	v_mov_b64_e32 v[4:5], s[0:1]
	s_and_not1_b32 vcc_lo, exec_lo, s10
	s_mov_b64 s[8:9], 0
	ds_load_b64 v[2:3], v2
	s_cbranch_vccnz .LBB66_106
; %bb.103:                              ;   in Loop: Header=BB66_102 Depth=1
	v_mov_b64_e32 v[4:5], s[0:1]
	s_mov_b32 s13, 0
.LBB66_104:                             ;   Parent Loop BB66_102 Depth=1
                                        ; =>  This Inner Loop Header: Depth=2
	s_delay_alu instid0(SALU_CYCLE_1)
	v_dual_mov_b32 v18, s13 :: v_dual_mov_b32 v15, s47
	v_mov_b32_e32 v17, s47
	s_add_nc_u64 s[8:9], s[8:9], 8
	s_add_co_i32 s13, s13, 64
	ds_load_2addr_b64 v[6:9], v18 offset1:1
	ds_load_2addr_b64 v[10:13], v18 offset0:2 offset1:3
	s_cmp_eq_u64 s[2:3], s[8:9]
	s_wait_dscnt 0x1
	v_cmp_gt_i64_e32 vcc_lo, v[2:3], v[6:7]
	v_cndmask_b32_e64 v14, 0, 1, vcc_lo
	v_cmp_gt_i64_e32 vcc_lo, v[2:3], v[8:9]
	s_delay_alu instid0(VALU_DEP_2) | instskip(SKIP_4) | instid1(VALU_DEP_2)
	v_add_nc_u64_e32 v[8:9], v[4:5], v[14:15]
	ds_load_2addr_b64 v[4:7], v18 offset0:4 offset1:5
	v_cndmask_b32_e64 v16, 0, 1, vcc_lo
	s_wait_dscnt 0x1
	v_cmp_gt_i64_e32 vcc_lo, v[2:3], v[10:11]
	v_add_nc_u64_e32 v[8:9], v[8:9], v[16:17]
	v_cndmask_b32_e64 v14, 0, 1, vcc_lo
	v_cmp_gt_i64_e32 vcc_lo, v[2:3], v[12:13]
	s_delay_alu instid0(VALU_DEP_2)
	v_add_nc_u64_e32 v[12:13], v[8:9], v[14:15]
	ds_load_2addr_b64 v[8:11], v18 offset0:6 offset1:7
	v_cndmask_b32_e64 v16, 0, 1, vcc_lo
	s_wait_dscnt 0x1
	v_cmp_gt_i64_e32 vcc_lo, v[2:3], v[4:5]
	v_mov_b32_e32 v5, s47
	s_delay_alu instid0(VALU_DEP_3) | instskip(SKIP_3) | instid1(VALU_DEP_3)
	v_add_nc_u64_e32 v[12:13], v[12:13], v[16:17]
	v_cndmask_b32_e64 v14, 0, 1, vcc_lo
	v_cmp_gt_i64_e32 vcc_lo, v[2:3], v[6:7]
	v_mov_b32_e32 v7, s47
	v_add_nc_u64_e32 v[12:13], v[12:13], v[14:15]
	v_cndmask_b32_e64 v4, 0, 1, vcc_lo
	s_wait_dscnt 0x0
	v_cmp_gt_i64_e32 vcc_lo, v[2:3], v[8:9]
	v_mov_b32_e32 v9, s47
	s_delay_alu instid0(VALU_DEP_3) | instskip(SKIP_2) | instid1(VALU_DEP_2)
	v_add_nc_u64_e32 v[4:5], v[12:13], v[4:5]
	v_cndmask_b32_e64 v6, 0, 1, vcc_lo
	v_cmp_gt_i64_e32 vcc_lo, v[2:3], v[10:11]
	v_add_nc_u64_e32 v[4:5], v[4:5], v[6:7]
	v_cndmask_b32_e64 v8, 0, 1, vcc_lo
	s_delay_alu instid0(VALU_DEP_1)
	v_add_nc_u64_e32 v[4:5], v[4:5], v[8:9]
	s_cbranch_scc0 .LBB66_104
; %bb.105:                              ;   in Loop: Header=BB66_102 Depth=1
	s_mov_b64 s[8:9], s[2:3]
.LBB66_106:                             ;   in Loop: Header=BB66_102 Depth=1
	s_and_not1_b32 vcc_lo, exec_lo, s11
	s_cbranch_vccnz .LBB66_101
; %bb.107:                              ;   in Loop: Header=BB66_102 Depth=1
	s_lshl_b32 s8, s8, 3
	s_delay_alu instid0(SALU_CYCLE_1)
	s_add_co_i32 s13, s8, 0
	s_mov_b64 s[8:9], s[6:7]
.LBB66_108:                             ;   Parent Loop BB66_102 Depth=1
                                        ; =>  This Inner Loop Header: Depth=2
	v_dual_mov_b32 v6, s13 :: v_dual_mov_b32 v9, s47
	s_add_nc_u64 s[8:9], s[8:9], -1
	s_add_co_i32 s13, s13, 8
	s_cmp_lg_u64 s[8:9], 0
	ds_load_b64 v[6:7], v6
	s_wait_dscnt 0x0
	v_cmp_gt_i64_e32 vcc_lo, v[2:3], v[6:7]
	v_cndmask_b32_e64 v8, 0, 1, vcc_lo
	s_delay_alu instid0(VALU_DEP_1)
	v_add_nc_u64_e32 v[4:5], v[4:5], v[8:9]
	s_cbranch_scc1 .LBB66_108
	s_branch .LBB66_101
.LBB66_109:
	s_endpgm
	.section	.rodata,"a",@progbits
	.p2align	6, 0x0
	.amdhsa_kernel _ZN9rocsparseL35csrgemm_symbolic_fill_block_per_rowILj1024ELj64ELj32768ELj137ELj32EllEEvT5_PKS1_S3_PKT4_S3_S6_S3_S6_S3_S6_PS1_21rocsparse_index_base_S8_S8_S8_bb
		.amdhsa_group_segment_fixed_size 0
		.amdhsa_private_segment_fixed_size 0
		.amdhsa_kernarg_size 108
		.amdhsa_user_sgpr_count 2
		.amdhsa_user_sgpr_dispatch_ptr 0
		.amdhsa_user_sgpr_queue_ptr 0
		.amdhsa_user_sgpr_kernarg_segment_ptr 1
		.amdhsa_user_sgpr_dispatch_id 0
		.amdhsa_user_sgpr_kernarg_preload_length 0
		.amdhsa_user_sgpr_kernarg_preload_offset 0
		.amdhsa_user_sgpr_private_segment_size 0
		.amdhsa_wavefront_size32 1
		.amdhsa_uses_dynamic_stack 0
		.amdhsa_enable_private_segment 0
		.amdhsa_system_sgpr_workgroup_id_x 1
		.amdhsa_system_sgpr_workgroup_id_y 0
		.amdhsa_system_sgpr_workgroup_id_z 0
		.amdhsa_system_sgpr_workgroup_info 0
		.amdhsa_system_vgpr_workitem_id 0
		.amdhsa_next_free_vgpr 19
		.amdhsa_next_free_sgpr 76
		.amdhsa_named_barrier_count 0
		.amdhsa_reserve_vcc 1
		.amdhsa_float_round_mode_32 0
		.amdhsa_float_round_mode_16_64 0
		.amdhsa_float_denorm_mode_32 3
		.amdhsa_float_denorm_mode_16_64 3
		.amdhsa_fp16_overflow 0
		.amdhsa_memory_ordered 1
		.amdhsa_forward_progress 1
		.amdhsa_inst_pref_size 31
		.amdhsa_round_robin_scheduling 0
		.amdhsa_exception_fp_ieee_invalid_op 0
		.amdhsa_exception_fp_denorm_src 0
		.amdhsa_exception_fp_ieee_div_zero 0
		.amdhsa_exception_fp_ieee_overflow 0
		.amdhsa_exception_fp_ieee_underflow 0
		.amdhsa_exception_fp_ieee_inexact 0
		.amdhsa_exception_int_div_zero 0
	.end_amdhsa_kernel
	.section	.text._ZN9rocsparseL35csrgemm_symbolic_fill_block_per_rowILj1024ELj64ELj32768ELj137ELj32EllEEvT5_PKS1_S3_PKT4_S3_S6_S3_S6_S3_S6_PS1_21rocsparse_index_base_S8_S8_S8_bb,"axG",@progbits,_ZN9rocsparseL35csrgemm_symbolic_fill_block_per_rowILj1024ELj64ELj32768ELj137ELj32EllEEvT5_PKS1_S3_PKT4_S3_S6_S3_S6_S3_S6_PS1_21rocsparse_index_base_S8_S8_S8_bb,comdat
.Lfunc_end66:
	.size	_ZN9rocsparseL35csrgemm_symbolic_fill_block_per_rowILj1024ELj64ELj32768ELj137ELj32EllEEvT5_PKS1_S3_PKT4_S3_S6_S3_S6_S3_S6_PS1_21rocsparse_index_base_S8_S8_S8_bb, .Lfunc_end66-_ZN9rocsparseL35csrgemm_symbolic_fill_block_per_rowILj1024ELj64ELj32768ELj137ELj32EllEEvT5_PKS1_S3_PKT4_S3_S6_S3_S6_S3_S6_PS1_21rocsparse_index_base_S8_S8_S8_bb
                                        ; -- End function
	.set _ZN9rocsparseL35csrgemm_symbolic_fill_block_per_rowILj1024ELj64ELj32768ELj137ELj32EllEEvT5_PKS1_S3_PKT4_S3_S6_S3_S6_S3_S6_PS1_21rocsparse_index_base_S8_S8_S8_bb.num_vgpr, 19
	.set _ZN9rocsparseL35csrgemm_symbolic_fill_block_per_rowILj1024ELj64ELj32768ELj137ELj32EllEEvT5_PKS1_S3_PKT4_S3_S6_S3_S6_S3_S6_PS1_21rocsparse_index_base_S8_S8_S8_bb.num_agpr, 0
	.set _ZN9rocsparseL35csrgemm_symbolic_fill_block_per_rowILj1024ELj64ELj32768ELj137ELj32EllEEvT5_PKS1_S3_PKT4_S3_S6_S3_S6_S3_S6_PS1_21rocsparse_index_base_S8_S8_S8_bb.numbered_sgpr, 76
	.set _ZN9rocsparseL35csrgemm_symbolic_fill_block_per_rowILj1024ELj64ELj32768ELj137ELj32EllEEvT5_PKS1_S3_PKT4_S3_S6_S3_S6_S3_S6_PS1_21rocsparse_index_base_S8_S8_S8_bb.num_named_barrier, 0
	.set _ZN9rocsparseL35csrgemm_symbolic_fill_block_per_rowILj1024ELj64ELj32768ELj137ELj32EllEEvT5_PKS1_S3_PKT4_S3_S6_S3_S6_S3_S6_PS1_21rocsparse_index_base_S8_S8_S8_bb.private_seg_size, 0
	.set _ZN9rocsparseL35csrgemm_symbolic_fill_block_per_rowILj1024ELj64ELj32768ELj137ELj32EllEEvT5_PKS1_S3_PKT4_S3_S6_S3_S6_S3_S6_PS1_21rocsparse_index_base_S8_S8_S8_bb.uses_vcc, 1
	.set _ZN9rocsparseL35csrgemm_symbolic_fill_block_per_rowILj1024ELj64ELj32768ELj137ELj32EllEEvT5_PKS1_S3_PKT4_S3_S6_S3_S6_S3_S6_PS1_21rocsparse_index_base_S8_S8_S8_bb.uses_flat_scratch, 0
	.set _ZN9rocsparseL35csrgemm_symbolic_fill_block_per_rowILj1024ELj64ELj32768ELj137ELj32EllEEvT5_PKS1_S3_PKT4_S3_S6_S3_S6_S3_S6_PS1_21rocsparse_index_base_S8_S8_S8_bb.has_dyn_sized_stack, 0
	.set _ZN9rocsparseL35csrgemm_symbolic_fill_block_per_rowILj1024ELj64ELj32768ELj137ELj32EllEEvT5_PKS1_S3_PKT4_S3_S6_S3_S6_S3_S6_PS1_21rocsparse_index_base_S8_S8_S8_bb.has_recursion, 0
	.set _ZN9rocsparseL35csrgemm_symbolic_fill_block_per_rowILj1024ELj64ELj32768ELj137ELj32EllEEvT5_PKS1_S3_PKT4_S3_S6_S3_S6_S3_S6_PS1_21rocsparse_index_base_S8_S8_S8_bb.has_indirect_call, 0
	.section	.AMDGPU.csdata,"",@progbits
; Kernel info:
; codeLenInByte = 3968
; TotalNumSgprs: 78
; NumVgprs: 19
; ScratchSize: 0
; MemoryBound: 0
; FloatMode: 240
; IeeeMode: 1
; LDSByteSize: 0 bytes/workgroup (compile time only)
; SGPRBlocks: 0
; VGPRBlocks: 1
; NumSGPRsForWavesPerEU: 78
; NumVGPRsForWavesPerEU: 19
; NamedBarCnt: 0
; Occupancy: 16
; WaveLimiterHint : 1
; COMPUTE_PGM_RSRC2:SCRATCH_EN: 0
; COMPUTE_PGM_RSRC2:USER_SGPR: 2
; COMPUTE_PGM_RSRC2:TRAP_HANDLER: 0
; COMPUTE_PGM_RSRC2:TGID_X_EN: 1
; COMPUTE_PGM_RSRC2:TGID_Y_EN: 0
; COMPUTE_PGM_RSRC2:TGID_Z_EN: 0
; COMPUTE_PGM_RSRC2:TIDIG_COMP_CNT: 0
	.section	.text._ZN9rocsparseL35csrgemm_symbolic_fill_block_per_rowILj1024ELj64ELj32768ELj137ELj64EllEEvT5_PKS1_S3_PKT4_S3_S6_S3_S6_S3_S6_PS1_21rocsparse_index_base_S8_S8_S8_bb,"axG",@progbits,_ZN9rocsparseL35csrgemm_symbolic_fill_block_per_rowILj1024ELj64ELj32768ELj137ELj64EllEEvT5_PKS1_S3_PKT4_S3_S6_S3_S6_S3_S6_PS1_21rocsparse_index_base_S8_S8_S8_bb,comdat
	.globl	_ZN9rocsparseL35csrgemm_symbolic_fill_block_per_rowILj1024ELj64ELj32768ELj137ELj64EllEEvT5_PKS1_S3_PKT4_S3_S6_S3_S6_S3_S6_PS1_21rocsparse_index_base_S8_S8_S8_bb ; -- Begin function _ZN9rocsparseL35csrgemm_symbolic_fill_block_per_rowILj1024ELj64ELj32768ELj137ELj64EllEEvT5_PKS1_S3_PKT4_S3_S6_S3_S6_S3_S6_PS1_21rocsparse_index_base_S8_S8_S8_bb
	.p2align	8
	.type	_ZN9rocsparseL35csrgemm_symbolic_fill_block_per_rowILj1024ELj64ELj32768ELj137ELj64EllEEvT5_PKS1_S3_PKT4_S3_S6_S3_S6_S3_S6_PS1_21rocsparse_index_base_S8_S8_S8_bb,@function
_ZN9rocsparseL35csrgemm_symbolic_fill_block_per_rowILj1024ELj64ELj32768ELj137ELj64EllEEvT5_PKS1_S3_PKT4_S3_S6_S3_S6_S3_S6_PS1_21rocsparse_index_base_S8_S8_S8_bb: ; @_ZN9rocsparseL35csrgemm_symbolic_fill_block_per_rowILj1024ELj64ELj32768ELj137ELj64EllEEvT5_PKS1_S3_PKT4_S3_S6_S3_S6_S3_S6_PS1_21rocsparse_index_base_S8_S8_S8_bb
; %bb.0:
	s_clause 0x3
	s_load_b256 s[16:23], s[0:1], 0x0
	s_load_b64 s[34:35], s[0:1], 0x50
	s_load_b128 s[28:31], s[0:1], 0x40
	s_load_b256 s[4:11], s[0:1], 0x20
	v_lshl_add_u32 v15, v0, 3, 0
	v_or_b32_e32 v18, 0xfffffc00, v0
	s_mov_b32 s2, 0
	s_delay_alu instid0(VALU_DEP_1)
	v_dual_mov_b32 v1, v15 :: v_dual_mov_b32 v4, v18
	s_wait_kmcnt 0x0
	v_mov_b64_e32 v[2:3], s[16:17]
.LBB67_1:                               ; =>This Inner Loop Header: Depth=1
	s_delay_alu instid0(VALU_DEP_2) | instskip(SKIP_4) | instid1(SALU_CYCLE_1)
	v_add_nc_u32_e32 v4, 0x400, v4
	ds_store_b64 v1, v[2:3]
	v_add_nc_u32_e32 v1, 0x2000, v1
	v_cmp_lt_u32_e32 vcc_lo, 0x7bff, v4
	s_or_b32 s2, vcc_lo, s2
	s_and_not1_b32 exec_lo, exec_lo, s2
	s_cbranch_execnz .LBB67_1
; %bb.2:
	s_or_b32 exec_lo, exec_lo, s2
	s_load_b32 s14, s[0:1], 0x68
	s_wait_dscnt 0x0
	s_barrier_signal -1
	s_barrier_wait -1
	s_load_b64 s[2:3], s[18:19], 0x0
	s_wait_xcnt 0x0
	s_getreg_b32 s18, hwreg(HW_REG_IB_STS2, 6, 4)
	v_lshrrev_b32_e32 v2, 6, v0
	s_wait_kmcnt 0x0
	s_bitcmp1_b32 s14, 0
	s_cselect_b32 s12, -1, 0
	s_bfe_u32 s13, ttmp6, 0x4000c
	s_and_b32 s15, ttmp6, 15
	s_add_co_i32 s13, s13, 1
	s_lshl_b64 s[2:3], s[2:3], 3
	s_mul_i32 s13, ttmp9, s13
	s_add_nc_u64 s[2:3], s[20:21], s[2:3]
	s_add_co_i32 s15, s15, s13
	s_cmp_eq_u32 s18, 0
	s_cselect_b32 s13, ttmp9, s15
	s_load_b128 s[24:27], s[0:1], 0x58
	s_load_b64 s[18:19], s[2:3], s13 offset:0x0 scale_offset
	s_and_b32 vcc_lo, exec_lo, s12
	s_wait_xcnt 0x0
	s_mov_b32 s1, 0
	s_cbranch_vccz .LBB67_18
; %bb.3:
	s_wait_kmcnt 0x0
	s_lshl_b64 s[2:3], s[18:19], 3
	v_mov_b32_e32 v3, 0
	s_add_nc_u64 s[2:3], s[22:23], s[2:3]
	s_mov_b32 s0, s24
	s_load_b128 s[20:23], s[2:3], 0x0
	s_mov_b32 s15, exec_lo
	v_sub_nc_u64_e64 v[4:5], v[2:3], s[0:1]
	s_wait_kmcnt 0x0
	s_delay_alu instid0(VALU_DEP_1)
	v_add_nc_u64_e32 v[4:5], s[20:21], v[4:5]
	s_sub_nc_u64 s[2:3], s[22:23], s[0:1]
	s_delay_alu instid0(VALU_DEP_1) | instid1(SALU_CYCLE_1)
	v_cmpx_gt_i64_e64 s[2:3], v[4:5]
	s_cbranch_execz .LBB67_17
; %bb.4:
	v_dual_mov_b32 v7, v3 :: v_dual_bitop2_b32 v6, 63, v0 bitop3:0x40
	s_mov_b32 s13, 0
	s_mov_b32 s12, s25
	;; [unrolled: 1-line block ×3, first 2 shown]
	s_delay_alu instid0(VALU_DEP_1)
	v_sub_nc_u64_e64 v[6:7], v[6:7], s[12:13]
	s_branch .LBB67_6
.LBB67_5:                               ;   in Loop: Header=BB67_6 Depth=1
	s_or_b32 exec_lo, exec_lo, s21
	v_add_nc_u64_e32 v[4:5], 16, v[4:5]
	s_delay_alu instid0(VALU_DEP_1) | instskip(SKIP_1) | instid1(SALU_CYCLE_1)
	v_cmp_le_i64_e32 vcc_lo, s[2:3], v[4:5]
	s_or_b32 s20, vcc_lo, s20
	s_and_not1_b32 exec_lo, exec_lo, s20
	s_cbranch_execz .LBB67_17
.LBB67_6:                               ; =>This Loop Header: Depth=1
                                        ;     Child Loop BB67_9 Depth 2
                                        ;       Child Loop BB67_12 Depth 3
	v_lshl_add_u64 v[8:9], v[4:5], 3, s[4:5]
	s_mov_b32 s21, exec_lo
	global_load_b64 v[8:9], v[8:9], off
	s_wait_loadcnt 0x0
	v_sub_nc_u64_e64 v[8:9], v[8:9], s[0:1]
	s_delay_alu instid0(VALU_DEP_1) | instskip(SKIP_4) | instid1(VALU_DEP_1)
	v_lshl_add_u64 v[8:9], v[8:9], 3, s[6:7]
	global_load_b128 v[10:13], v[8:9], off
	s_wait_loadcnt 0x0
	v_sub_nc_u64_e64 v[8:9], v[12:13], s[12:13]
	v_add_nc_u64_e32 v[10:11], v[10:11], v[6:7]
	v_cmpx_lt_i64_e64 v[10:11], v[8:9]
	s_cbranch_execz .LBB67_5
; %bb.7:                                ;   in Loop: Header=BB67_6 Depth=1
	s_mov_b32 s22, 0
	s_branch .LBB67_9
.LBB67_8:                               ;   in Loop: Header=BB67_9 Depth=2
	s_or_b32 exec_lo, exec_lo, s23
	v_add_nc_u64_e32 v[10:11], 64, v[10:11]
	s_delay_alu instid0(VALU_DEP_1) | instskip(SKIP_1) | instid1(SALU_CYCLE_1)
	v_cmp_ge_i64_e32 vcc_lo, v[10:11], v[8:9]
	s_or_b32 s22, vcc_lo, s22
	s_and_not1_b32 exec_lo, exec_lo, s22
	s_cbranch_execz .LBB67_5
.LBB67_9:                               ;   Parent Loop BB67_6 Depth=1
                                        ; =>  This Loop Header: Depth=2
                                        ;       Child Loop BB67_12 Depth 3
	v_lshl_add_u64 v[12:13], v[10:11], 3, s[8:9]
	s_mov_b32 s23, 0
                                        ; implicit-def: $sgpr24
	global_load_b64 v[12:13], v[12:13], off
	s_wait_loadcnt 0x0
	v_sub_nc_u64_e64 v[12:13], v[12:13], s[12:13]
	s_delay_alu instid0(VALU_DEP_1) | instskip(NEXT) | instid1(VALU_DEP_1)
	v_mul_lo_u32 v1, 0x89, v12
	v_and_b32_e32 v14, 0x7fff, v1
	s_branch .LBB67_12
.LBB67_10:                              ;   in Loop: Header=BB67_12 Depth=3
	s_or_b32 exec_lo, exec_lo, s33
	s_delay_alu instid0(SALU_CYCLE_1) | instskip(SKIP_1) | instid1(SALU_CYCLE_1)
	s_and_not1_b32 s24, s24, exec_lo
	s_and_b32 s33, s36, exec_lo
	s_or_b32 s24, s24, s33
.LBB67_11:                              ;   in Loop: Header=BB67_12 Depth=3
	s_or_b32 exec_lo, exec_lo, s25
	s_xor_b32 s25, s24, -1
	s_delay_alu instid0(SALU_CYCLE_1) | instskip(NEXT) | instid1(SALU_CYCLE_1)
	s_and_b32 s25, exec_lo, s25
	s_or_b32 s23, s25, s23
	s_delay_alu instid0(SALU_CYCLE_1)
	s_and_not1_b32 exec_lo, exec_lo, s23
	s_cbranch_execz .LBB67_8
.LBB67_12:                              ;   Parent Loop BB67_6 Depth=1
                                        ;     Parent Loop BB67_9 Depth=2
                                        ; =>    This Inner Loop Header: Depth=3
	s_delay_alu instid0(VALU_DEP_1)
	v_lshl_add_u32 v1, v14, 3, 0
	s_and_not1_b32 s24, s24, exec_lo
	s_mov_b32 s25, exec_lo
	ds_load_b64 v[16:17], v1
	s_wait_dscnt 0x0
	v_cmpx_ne_u64_e64 v[16:17], v[12:13]
	s_cbranch_execz .LBB67_11
; %bb.13:                               ;   in Loop: Header=BB67_12 Depth=3
	s_mov_b32 s33, exec_lo
	v_cmpx_ne_u64_e64 s[16:17], v[16:17]
	s_xor_b32 s33, exec_lo, s33
; %bb.14:                               ;   in Loop: Header=BB67_12 Depth=3
	v_add_nc_u32_e32 v1, 1, v14
	s_delay_alu instid0(VALU_DEP_1)
	v_and_b32_e32 v14, 0x7fff, v1
                                        ; implicit-def: $vgpr1
; %bb.15:                               ;   in Loop: Header=BB67_12 Depth=3
	s_or_saveexec_b32 s33, s33
	s_mov_b32 s36, -1
	s_xor_b32 exec_lo, exec_lo, s33
	s_cbranch_execz .LBB67_10
; %bb.16:                               ;   in Loop: Header=BB67_12 Depth=3
	v_mov_b64_e32 v[16:17], s[16:17]
	ds_cmpstore_rtn_b64 v[16:17], v1, v[12:13], v[16:17]
	s_wait_dscnt 0x0
	v_cmp_ne_u64_e32 vcc_lo, s[16:17], v[16:17]
	s_or_not1_b32 s36, vcc_lo, exec_lo
	s_branch .LBB67_10
.LBB67_17:
	s_or_b32 exec_lo, exec_lo, s15
.LBB67_18:
	s_bfe_u32 s0, s14, 0x10008
	s_delay_alu instid0(SALU_CYCLE_1)
	s_cmp_eq_u32 s0, 0
	s_cbranch_scc1 .LBB67_31
; %bb.19:
	s_wait_kmcnt 0x0
	s_lshl_b64 s[0:1], s[18:19], 3
	v_mov_b32_e32 v1, 0
	s_add_nc_u64 s[0:1], s[10:11], s[0:1]
	s_load_b128 s[4:7], s[0:1], 0x0
	s_wait_xcnt 0x0
	s_mov_b32 s1, 0
	s_mov_b32 s0, s27
	s_delay_alu instid0(SALU_CYCLE_1) | instskip(SKIP_1) | instid1(VALU_DEP_1)
	v_sub_nc_u64_e64 v[4:5], v[0:1], s[0:1]
	s_wait_kmcnt 0x0
	v_add_nc_u64_e32 v[4:5], s[4:5], v[4:5]
	s_sub_nc_u64 s[2:3], s[6:7], s[0:1]
	s_mov_b32 s4, exec_lo
	s_delay_alu instid0(VALU_DEP_1)
	v_cmpx_gt_i64_e64 s[2:3], v[4:5]
	s_cbranch_execz .LBB67_30
; %bb.20:
	s_mov_b32 s5, s1
	s_branch .LBB67_22
.LBB67_21:                              ;   in Loop: Header=BB67_22 Depth=1
	s_or_b32 exec_lo, exec_lo, s6
	v_add_nc_u64_e32 v[4:5], 0x400, v[4:5]
	s_delay_alu instid0(VALU_DEP_1) | instskip(SKIP_1) | instid1(SALU_CYCLE_1)
	v_cmp_le_i64_e32 vcc_lo, s[2:3], v[4:5]
	s_or_b32 s5, vcc_lo, s5
	s_and_not1_b32 exec_lo, exec_lo, s5
	s_cbranch_execz .LBB67_30
.LBB67_22:                              ; =>This Loop Header: Depth=1
                                        ;     Child Loop BB67_25 Depth 2
	v_lshl_add_u64 v[6:7], v[4:5], 3, s[28:29]
	s_mov_b32 s6, 0
                                        ; implicit-def: $sgpr7
	global_load_b64 v[6:7], v[6:7], off
	s_wait_loadcnt 0x0
	v_sub_nc_u64_e64 v[6:7], v[6:7], s[0:1]
	s_delay_alu instid0(VALU_DEP_1) | instskip(NEXT) | instid1(VALU_DEP_1)
	v_mul_lo_u32 v1, 0x89, v6
	v_and_b32_e32 v8, 0x7fff, v1
	s_branch .LBB67_25
.LBB67_23:                              ;   in Loop: Header=BB67_25 Depth=2
	s_or_b32 exec_lo, exec_lo, s9
	s_delay_alu instid0(SALU_CYCLE_1) | instskip(SKIP_1) | instid1(SALU_CYCLE_1)
	s_and_not1_b32 s7, s7, exec_lo
	s_and_b32 s9, s10, exec_lo
	s_or_b32 s7, s7, s9
.LBB67_24:                              ;   in Loop: Header=BB67_25 Depth=2
	s_or_b32 exec_lo, exec_lo, s8
	s_xor_b32 s8, s7, -1
	s_delay_alu instid0(SALU_CYCLE_1) | instskip(NEXT) | instid1(SALU_CYCLE_1)
	s_and_b32 s8, exec_lo, s8
	s_or_b32 s6, s8, s6
	s_delay_alu instid0(SALU_CYCLE_1)
	s_and_not1_b32 exec_lo, exec_lo, s6
	s_cbranch_execz .LBB67_21
.LBB67_25:                              ;   Parent Loop BB67_22 Depth=1
                                        ; =>  This Inner Loop Header: Depth=2
	s_delay_alu instid0(VALU_DEP_1)
	v_lshl_add_u32 v1, v8, 3, 0
	s_and_not1_b32 s7, s7, exec_lo
	s_mov_b32 s8, exec_lo
	ds_load_b64 v[10:11], v1
	s_wait_dscnt 0x0
	v_cmpx_ne_u64_e64 v[10:11], v[6:7]
	s_cbranch_execz .LBB67_24
; %bb.26:                               ;   in Loop: Header=BB67_25 Depth=2
	s_mov_b32 s9, exec_lo
	v_cmpx_ne_u64_e64 s[16:17], v[10:11]
	s_xor_b32 s9, exec_lo, s9
; %bb.27:                               ;   in Loop: Header=BB67_25 Depth=2
	v_add_nc_u32_e32 v1, 1, v8
	s_delay_alu instid0(VALU_DEP_1)
	v_and_b32_e32 v8, 0x7fff, v1
                                        ; implicit-def: $vgpr1
; %bb.28:                               ;   in Loop: Header=BB67_25 Depth=2
	s_or_saveexec_b32 s9, s9
	s_mov_b32 s10, -1
	s_xor_b32 exec_lo, exec_lo, s9
	s_cbranch_execz .LBB67_23
; %bb.29:                               ;   in Loop: Header=BB67_25 Depth=2
	v_mov_b64_e32 v[10:11], s[16:17]
	ds_cmpstore_rtn_b64 v[10:11], v1, v[6:7], v[10:11]
	s_wait_dscnt 0x0
	v_cmp_ne_u64_e32 vcc_lo, s[16:17], v[10:11]
	s_or_not1_b32 s10, vcc_lo, exec_lo
	s_branch .LBB67_23
.LBB67_30:
	s_or_b32 exec_lo, exec_lo, s4
.LBB67_31:
	v_mbcnt_lo_u32_b32 v1, -1, 0
	v_lshlrev_b32_e32 v2, 3, v2
	v_mov_b64_e32 v[6:7], 0
	s_add_co_i32 s38, 0, 0x40078
	s_delay_alu instid0(SALU_CYCLE_1)
	v_dual_mov_b32 v3, 0 :: v_dual_mov_b32 v5, s38
	v_xor_b32_e32 v4, 31, v1
	v_add3_u32 v1, 0x40000, 0, v2
	v_cmp_lt_u32_e64 s0, 63, v0
	v_cmp_lt_u32_e64 s1, 0x7f, v0
	;; [unrolled: 1-line block ×3, first 2 shown]
	v_lshrrev_b32_e64 v4, v4, -1
	v_cmp_lt_u32_e64 s3, 0xff, v0
	v_cmp_lt_u32_e64 s4, 0x13f, v0
	;; [unrolled: 1-line block ×12, first 2 shown]
	s_mov_b32 s20, 0
	s_add_co_i32 s21, 0, 0x40000
	s_add_co_i32 s22, 0, 0x40008
	;; [unrolled: 1-line block ×3, first 2 shown]
	s_wait_kmcnt 0x0
	s_add_co_i32 s24, 0, 0x40018
	s_add_co_i32 s25, 0, 0x40020
	;; [unrolled: 1-line block ×12, first 2 shown]
	s_barrier_signal -1
	s_barrier_wait -1
	v_cmp_eq_u32_e32 vcc_lo, 0x3ff, v0
	s_branch .LBB67_33
.LBB67_32:                              ;   in Loop: Header=BB67_33 Depth=1
	s_or_b32 exec_lo, exec_lo, s15
	s_wait_dscnt 0x0
	s_barrier_signal -1
	s_barrier_wait -1
	ds_load_b64 v[8:9], v5
	v_add_nc_u32_e32 v18, 0x400, v18
	v_add_nc_u32_e32 v15, 0x2000, v15
	s_delay_alu instid0(VALU_DEP_2)
	v_cmp_lt_u32_e64 s15, 0x7bff, v18
	s_or_b32 s20, s15, s20
	s_wait_dscnt 0x0
	v_add_nc_u64_e32 v[6:7], v[8:9], v[6:7]
	s_and_not1_b32 exec_lo, exec_lo, s20
	s_cbranch_execz .LBB67_67
.LBB67_33:                              ; =>This Inner Loop Header: Depth=1
	ds_load_b64 v[8:9], v15
	s_wait_dscnt 0x0
	s_barrier_signal -1
	s_barrier_wait -1
	v_cmp_gt_i64_e64 s15, s[16:17], v[8:9]
	s_bcnt1_i32_b32 s43, s15
	s_delay_alu instid0(SALU_CYCLE_1) | instskip(NEXT) | instid1(VALU_DEP_1)
	v_dual_mov_b32 v2, s43 :: v_dual_bitop2_b32 v10, s15, v4 bitop3:0x40
	v_bcnt_u32_b32 v10, v10, 0
	ds_store_b64 v1, v[2:3]
	s_wait_dscnt 0x0
	s_barrier_signal -1
	s_barrier_wait -1
	s_and_saveexec_b32 s43, s0
	s_cbranch_execnz .LBB67_50
; %bb.34:                               ;   in Loop: Header=BB67_33 Depth=1
	s_or_b32 exec_lo, exec_lo, s43
	s_and_saveexec_b32 s43, s1
	s_cbranch_execnz .LBB67_51
.LBB67_35:                              ;   in Loop: Header=BB67_33 Depth=1
	s_or_b32 exec_lo, exec_lo, s43
	s_and_saveexec_b32 s43, s2
	s_cbranch_execnz .LBB67_52
.LBB67_36:                              ;   in Loop: Header=BB67_33 Depth=1
	s_or_b32 exec_lo, exec_lo, s43
	s_and_saveexec_b32 s43, s3
	s_cbranch_execnz .LBB67_53
.LBB67_37:                              ;   in Loop: Header=BB67_33 Depth=1
	s_or_b32 exec_lo, exec_lo, s43
	s_and_saveexec_b32 s43, s4
	s_cbranch_execnz .LBB67_54
.LBB67_38:                              ;   in Loop: Header=BB67_33 Depth=1
	s_or_b32 exec_lo, exec_lo, s43
	s_and_saveexec_b32 s43, s5
	s_cbranch_execnz .LBB67_55
.LBB67_39:                              ;   in Loop: Header=BB67_33 Depth=1
	s_or_b32 exec_lo, exec_lo, s43
	s_and_saveexec_b32 s43, s6
	s_cbranch_execnz .LBB67_56
.LBB67_40:                              ;   in Loop: Header=BB67_33 Depth=1
	s_or_b32 exec_lo, exec_lo, s43
	s_and_saveexec_b32 s43, s7
	s_cbranch_execnz .LBB67_57
.LBB67_41:                              ;   in Loop: Header=BB67_33 Depth=1
	s_or_b32 exec_lo, exec_lo, s43
	s_and_saveexec_b32 s43, s8
	s_cbranch_execnz .LBB67_58
.LBB67_42:                              ;   in Loop: Header=BB67_33 Depth=1
	s_or_b32 exec_lo, exec_lo, s43
	s_and_saveexec_b32 s43, s9
	s_cbranch_execnz .LBB67_59
.LBB67_43:                              ;   in Loop: Header=BB67_33 Depth=1
	s_or_b32 exec_lo, exec_lo, s43
	s_and_saveexec_b32 s43, s10
	s_cbranch_execnz .LBB67_60
.LBB67_44:                              ;   in Loop: Header=BB67_33 Depth=1
	s_or_b32 exec_lo, exec_lo, s43
	s_and_saveexec_b32 s43, s11
	s_cbranch_execnz .LBB67_61
.LBB67_45:                              ;   in Loop: Header=BB67_33 Depth=1
	s_or_b32 exec_lo, exec_lo, s43
	s_and_saveexec_b32 s43, s12
	s_cbranch_execnz .LBB67_62
.LBB67_46:                              ;   in Loop: Header=BB67_33 Depth=1
	s_or_b32 exec_lo, exec_lo, s43
	s_and_saveexec_b32 s43, s13
	s_cbranch_execnz .LBB67_63
.LBB67_47:                              ;   in Loop: Header=BB67_33 Depth=1
	s_or_b32 exec_lo, exec_lo, s43
	s_and_saveexec_b32 s43, s14
	s_cbranch_execnz .LBB67_64
.LBB67_48:                              ;   in Loop: Header=BB67_33 Depth=1
	s_or_b32 exec_lo, exec_lo, s43
	v_ashrrev_i32_e32 v11, 31, v10
	s_and_saveexec_b32 s43, s15
	s_cbranch_execnz .LBB67_65
.LBB67_49:                              ;   in Loop: Header=BB67_33 Depth=1
	s_or_b32 exec_lo, exec_lo, s43
	s_and_saveexec_b32 s15, vcc_lo
	s_cbranch_execz .LBB67_32
	s_branch .LBB67_66
.LBB67_50:                              ;   in Loop: Header=BB67_33 Depth=1
	v_mov_b32_e32 v2, s21
	ds_load_b32 v2, v2
	s_wait_dscnt 0x0
	v_add_nc_u32_e32 v10, v2, v10
	s_or_b32 exec_lo, exec_lo, s43
	s_and_saveexec_b32 s43, s1
	s_cbranch_execz .LBB67_35
.LBB67_51:                              ;   in Loop: Header=BB67_33 Depth=1
	v_mov_b32_e32 v2, s22
	ds_load_b32 v2, v2
	s_wait_dscnt 0x0
	v_add_nc_u32_e32 v10, v10, v2
	s_or_b32 exec_lo, exec_lo, s43
	s_and_saveexec_b32 s43, s2
	s_cbranch_execz .LBB67_36
.LBB67_52:                              ;   in Loop: Header=BB67_33 Depth=1
	v_mov_b32_e32 v2, s23
	ds_load_b32 v2, v2
	s_wait_dscnt 0x0
	v_add_nc_u32_e32 v10, v10, v2
	s_or_b32 exec_lo, exec_lo, s43
	s_and_saveexec_b32 s43, s3
	s_cbranch_execz .LBB67_37
.LBB67_53:                              ;   in Loop: Header=BB67_33 Depth=1
	v_mov_b32_e32 v2, s24
	ds_load_b32 v2, v2
	s_wait_dscnt 0x0
	v_add_nc_u32_e32 v10, v10, v2
	s_or_b32 exec_lo, exec_lo, s43
	s_and_saveexec_b32 s43, s4
	s_cbranch_execz .LBB67_38
.LBB67_54:                              ;   in Loop: Header=BB67_33 Depth=1
	v_mov_b32_e32 v2, s25
	ds_load_b32 v2, v2
	s_wait_dscnt 0x0
	v_add_nc_u32_e32 v10, v10, v2
	s_or_b32 exec_lo, exec_lo, s43
	s_and_saveexec_b32 s43, s5
	s_cbranch_execz .LBB67_39
.LBB67_55:                              ;   in Loop: Header=BB67_33 Depth=1
	v_mov_b32_e32 v2, s27
	ds_load_b32 v2, v2
	s_wait_dscnt 0x0
	v_add_nc_u32_e32 v10, v10, v2
	s_or_b32 exec_lo, exec_lo, s43
	s_and_saveexec_b32 s43, s6
	s_cbranch_execz .LBB67_40
.LBB67_56:                              ;   in Loop: Header=BB67_33 Depth=1
	v_mov_b32_e32 v2, s28
	ds_load_b32 v2, v2
	s_wait_dscnt 0x0
	v_add_nc_u32_e32 v10, v10, v2
	s_or_b32 exec_lo, exec_lo, s43
	s_and_saveexec_b32 s43, s7
	s_cbranch_execz .LBB67_41
.LBB67_57:                              ;   in Loop: Header=BB67_33 Depth=1
	v_mov_b32_e32 v2, s29
	ds_load_b32 v2, v2
	s_wait_dscnt 0x0
	v_add_nc_u32_e32 v10, v10, v2
	s_or_b32 exec_lo, exec_lo, s43
	s_and_saveexec_b32 s43, s8
	s_cbranch_execz .LBB67_42
.LBB67_58:                              ;   in Loop: Header=BB67_33 Depth=1
	v_mov_b32_e32 v2, s33
	ds_load_b32 v2, v2
	s_wait_dscnt 0x0
	v_add_nc_u32_e32 v10, v10, v2
	s_or_b32 exec_lo, exec_lo, s43
	s_and_saveexec_b32 s43, s9
	s_cbranch_execz .LBB67_43
.LBB67_59:                              ;   in Loop: Header=BB67_33 Depth=1
	v_mov_b32_e32 v2, s36
	ds_load_b32 v2, v2
	s_wait_dscnt 0x0
	v_add_nc_u32_e32 v10, v10, v2
	s_or_b32 exec_lo, exec_lo, s43
	s_and_saveexec_b32 s43, s10
	s_cbranch_execz .LBB67_44
.LBB67_60:                              ;   in Loop: Header=BB67_33 Depth=1
	v_mov_b32_e32 v2, s37
	ds_load_b32 v2, v2
	s_wait_dscnt 0x0
	v_add_nc_u32_e32 v10, v10, v2
	s_or_b32 exec_lo, exec_lo, s43
	s_and_saveexec_b32 s43, s11
	s_cbranch_execz .LBB67_45
.LBB67_61:                              ;   in Loop: Header=BB67_33 Depth=1
	v_mov_b32_e32 v2, s39
	ds_load_b32 v2, v2
	s_wait_dscnt 0x0
	v_add_nc_u32_e32 v10, v10, v2
	s_or_b32 exec_lo, exec_lo, s43
	s_and_saveexec_b32 s43, s12
	s_cbranch_execz .LBB67_46
.LBB67_62:                              ;   in Loop: Header=BB67_33 Depth=1
	v_mov_b32_e32 v2, s40
	ds_load_b32 v2, v2
	s_wait_dscnt 0x0
	v_add_nc_u32_e32 v10, v10, v2
	s_or_b32 exec_lo, exec_lo, s43
	s_and_saveexec_b32 s43, s13
	s_cbranch_execz .LBB67_47
.LBB67_63:                              ;   in Loop: Header=BB67_33 Depth=1
	v_mov_b32_e32 v2, s41
	ds_load_b32 v2, v2
	s_wait_dscnt 0x0
	v_add_nc_u32_e32 v10, v10, v2
	s_or_b32 exec_lo, exec_lo, s43
	s_and_saveexec_b32 s43, s14
	s_cbranch_execz .LBB67_48
.LBB67_64:                              ;   in Loop: Header=BB67_33 Depth=1
	v_mov_b32_e32 v2, s42
	ds_load_b32 v2, v2
	s_wait_dscnt 0x0
	v_add_nc_u32_e32 v10, v10, v2
	s_or_b32 exec_lo, exec_lo, s43
	s_delay_alu instid0(VALU_DEP_1)
	v_ashrrev_i32_e32 v11, 31, v10
	s_and_saveexec_b32 s43, s15
	s_cbranch_execz .LBB67_49
.LBB67_65:                              ;   in Loop: Header=BB67_33 Depth=1
	v_lshlrev_b32_e32 v2, 3, v6
	v_lshlrev_b32_e32 v12, 3, v10
	s_delay_alu instid0(VALU_DEP_2) | instskip(NEXT) | instid1(VALU_DEP_1)
	v_add_nc_u32_e32 v2, 0, v2
	v_add3_u32 v2, v2, v12, -8
	ds_store_b64 v2, v[8:9]
	s_or_b32 exec_lo, exec_lo, s43
	s_and_saveexec_b32 s15, vcc_lo
	s_cbranch_execz .LBB67_32
.LBB67_66:                              ;   in Loop: Header=BB67_33 Depth=1
	v_mov_b32_e32 v2, s38
	ds_store_b64 v2, v[10:11]
	s_branch .LBB67_32
.LBB67_67:
	s_or_b32 exec_lo, exec_lo, s20
	s_lshl_b64 s[0:1], s[18:19], 3
	v_mov_b32_e32 v1, 0
	s_add_nc_u64 s[4:5], s[30:31], s[0:1]
	s_mov_b32 s6, exec_lo
	s_load_b128 s[0:3], s[4:5], 0x0
	s_wait_kmcnt 0x0
	s_sub_nc_u64 s[4:5], s[2:3], s[0:1]
	s_delay_alu instid0(SALU_CYCLE_1)
	v_cmpx_gt_i64_e64 s[4:5], v[0:1]
	s_cbranch_execz .LBB67_77
; %bb.68:
	s_sub_nc_u64 s[8:9], s[0:1], s[2:3]
	s_and_b64 s[6:7], s[4:5], 7
	v_cmp_lt_u64_e64 s10, s[8:9], -7
	s_and_b64 s[2:3], s[4:5], -8
	s_mov_b32 s27, 0
	s_cmp_lg_u64 s[6:7], 0
	s_sub_nc_u64 s[0:1], s[0:1], s[26:27]
	s_cselect_b32 s11, -1, 0
	s_mov_b32 s12, s27
	s_branch .LBB67_70
.LBB67_69:                              ;   in Loop: Header=BB67_70 Depth=1
	v_add_nc_u64_e32 v[0:1], 0x400, v[0:1]
	s_wait_dscnt 0x0
	v_add_nc_u64_e32 v[2:3], s[26:27], v[2:3]
	s_delay_alu instid0(VALU_DEP_3) | instskip(NEXT) | instid1(VALU_DEP_3)
	v_lshl_add_u64 v[4:5], v[4:5], 3, s[34:35]
	v_cmp_le_i64_e32 vcc_lo, s[4:5], v[0:1]
	global_store_b64 v[4:5], v[2:3], off
	s_or_b32 s12, vcc_lo, s12
	s_wait_xcnt 0x0
	s_and_not1_b32 exec_lo, exec_lo, s12
	s_cbranch_execz .LBB67_77
.LBB67_70:                              ; =>This Loop Header: Depth=1
                                        ;     Child Loop BB67_72 Depth 2
                                        ;     Child Loop BB67_76 Depth 2
	v_lshl_add_u32 v2, v0, 3, 0
	v_mov_b64_e32 v[4:5], s[0:1]
	s_and_not1_b32 vcc_lo, exec_lo, s10
	s_mov_b64 s[8:9], 0
	ds_load_b64 v[2:3], v2
	s_cbranch_vccnz .LBB67_74
; %bb.71:                               ;   in Loop: Header=BB67_70 Depth=1
	v_mov_b64_e32 v[4:5], s[0:1]
	s_mov_b32 s13, 0
.LBB67_72:                              ;   Parent Loop BB67_70 Depth=1
                                        ; =>  This Inner Loop Header: Depth=2
	s_delay_alu instid0(SALU_CYCLE_1)
	v_dual_mov_b32 v18, s13 :: v_dual_mov_b32 v15, s27
	v_mov_b32_e32 v17, s27
	s_add_nc_u64 s[8:9], s[8:9], 8
	s_add_co_i32 s13, s13, 64
	ds_load_2addr_b64 v[6:9], v18 offset1:1
	ds_load_2addr_b64 v[10:13], v18 offset0:2 offset1:3
	s_cmp_eq_u64 s[2:3], s[8:9]
	s_wait_dscnt 0x1
	v_cmp_gt_i64_e32 vcc_lo, v[2:3], v[6:7]
	v_cndmask_b32_e64 v14, 0, 1, vcc_lo
	v_cmp_gt_i64_e32 vcc_lo, v[2:3], v[8:9]
	s_delay_alu instid0(VALU_DEP_2) | instskip(SKIP_4) | instid1(VALU_DEP_2)
	v_add_nc_u64_e32 v[8:9], v[4:5], v[14:15]
	ds_load_2addr_b64 v[4:7], v18 offset0:4 offset1:5
	v_cndmask_b32_e64 v16, 0, 1, vcc_lo
	s_wait_dscnt 0x1
	v_cmp_gt_i64_e32 vcc_lo, v[2:3], v[10:11]
	v_add_nc_u64_e32 v[8:9], v[8:9], v[16:17]
	v_cndmask_b32_e64 v14, 0, 1, vcc_lo
	v_cmp_gt_i64_e32 vcc_lo, v[2:3], v[12:13]
	s_delay_alu instid0(VALU_DEP_2)
	v_add_nc_u64_e32 v[12:13], v[8:9], v[14:15]
	ds_load_2addr_b64 v[8:11], v18 offset0:6 offset1:7
	v_cndmask_b32_e64 v16, 0, 1, vcc_lo
	s_wait_dscnt 0x1
	v_cmp_gt_i64_e32 vcc_lo, v[2:3], v[4:5]
	v_mov_b32_e32 v5, s27
	s_delay_alu instid0(VALU_DEP_3) | instskip(SKIP_3) | instid1(VALU_DEP_3)
	v_add_nc_u64_e32 v[12:13], v[12:13], v[16:17]
	v_cndmask_b32_e64 v14, 0, 1, vcc_lo
	v_cmp_gt_i64_e32 vcc_lo, v[2:3], v[6:7]
	v_mov_b32_e32 v7, s27
	v_add_nc_u64_e32 v[12:13], v[12:13], v[14:15]
	v_cndmask_b32_e64 v4, 0, 1, vcc_lo
	s_wait_dscnt 0x0
	v_cmp_gt_i64_e32 vcc_lo, v[2:3], v[8:9]
	v_mov_b32_e32 v9, s27
	s_delay_alu instid0(VALU_DEP_3) | instskip(SKIP_2) | instid1(VALU_DEP_2)
	v_add_nc_u64_e32 v[4:5], v[12:13], v[4:5]
	v_cndmask_b32_e64 v6, 0, 1, vcc_lo
	v_cmp_gt_i64_e32 vcc_lo, v[2:3], v[10:11]
	v_add_nc_u64_e32 v[4:5], v[4:5], v[6:7]
	v_cndmask_b32_e64 v8, 0, 1, vcc_lo
	s_delay_alu instid0(VALU_DEP_1)
	v_add_nc_u64_e32 v[4:5], v[4:5], v[8:9]
	s_cbranch_scc0 .LBB67_72
; %bb.73:                               ;   in Loop: Header=BB67_70 Depth=1
	s_mov_b64 s[8:9], s[2:3]
.LBB67_74:                              ;   in Loop: Header=BB67_70 Depth=1
	s_and_not1_b32 vcc_lo, exec_lo, s11
	s_cbranch_vccnz .LBB67_69
; %bb.75:                               ;   in Loop: Header=BB67_70 Depth=1
	s_lshl_b32 s8, s8, 3
	s_delay_alu instid0(SALU_CYCLE_1)
	s_add_co_i32 s13, s8, 0
	s_mov_b64 s[8:9], s[6:7]
.LBB67_76:                              ;   Parent Loop BB67_70 Depth=1
                                        ; =>  This Inner Loop Header: Depth=2
	v_dual_mov_b32 v6, s13 :: v_dual_mov_b32 v9, s27
	s_add_nc_u64 s[8:9], s[8:9], -1
	s_add_co_i32 s13, s13, 8
	s_cmp_lg_u64 s[8:9], 0
	ds_load_b64 v[6:7], v6
	s_wait_dscnt 0x0
	v_cmp_gt_i64_e32 vcc_lo, v[2:3], v[6:7]
	v_cndmask_b32_e64 v8, 0, 1, vcc_lo
	s_delay_alu instid0(VALU_DEP_1)
	v_add_nc_u64_e32 v[4:5], v[4:5], v[8:9]
	s_cbranch_scc1 .LBB67_76
	s_branch .LBB67_69
.LBB67_77:
	s_endpgm
	.section	.rodata,"a",@progbits
	.p2align	6, 0x0
	.amdhsa_kernel _ZN9rocsparseL35csrgemm_symbolic_fill_block_per_rowILj1024ELj64ELj32768ELj137ELj64EllEEvT5_PKS1_S3_PKT4_S3_S6_S3_S6_S3_S6_PS1_21rocsparse_index_base_S8_S8_S8_bb
		.amdhsa_group_segment_fixed_size 0
		.amdhsa_private_segment_fixed_size 0
		.amdhsa_kernarg_size 108
		.amdhsa_user_sgpr_count 2
		.amdhsa_user_sgpr_dispatch_ptr 0
		.amdhsa_user_sgpr_queue_ptr 0
		.amdhsa_user_sgpr_kernarg_segment_ptr 1
		.amdhsa_user_sgpr_dispatch_id 0
		.amdhsa_user_sgpr_kernarg_preload_length 0
		.amdhsa_user_sgpr_kernarg_preload_offset 0
		.amdhsa_user_sgpr_private_segment_size 0
		.amdhsa_wavefront_size32 1
		.amdhsa_uses_dynamic_stack 0
		.amdhsa_enable_private_segment 0
		.amdhsa_system_sgpr_workgroup_id_x 1
		.amdhsa_system_sgpr_workgroup_id_y 0
		.amdhsa_system_sgpr_workgroup_id_z 0
		.amdhsa_system_sgpr_workgroup_info 0
		.amdhsa_system_vgpr_workitem_id 0
		.amdhsa_next_free_vgpr 19
		.amdhsa_next_free_sgpr 44
		.amdhsa_named_barrier_count 0
		.amdhsa_reserve_vcc 1
		.amdhsa_float_round_mode_32 0
		.amdhsa_float_round_mode_16_64 0
		.amdhsa_float_denorm_mode_32 3
		.amdhsa_float_denorm_mode_16_64 3
		.amdhsa_fp16_overflow 0
		.amdhsa_memory_ordered 1
		.amdhsa_forward_progress 1
		.amdhsa_inst_pref_size 24
		.amdhsa_round_robin_scheduling 0
		.amdhsa_exception_fp_ieee_invalid_op 0
		.amdhsa_exception_fp_denorm_src 0
		.amdhsa_exception_fp_ieee_div_zero 0
		.amdhsa_exception_fp_ieee_overflow 0
		.amdhsa_exception_fp_ieee_underflow 0
		.amdhsa_exception_fp_ieee_inexact 0
		.amdhsa_exception_int_div_zero 0
	.end_amdhsa_kernel
	.section	.text._ZN9rocsparseL35csrgemm_symbolic_fill_block_per_rowILj1024ELj64ELj32768ELj137ELj64EllEEvT5_PKS1_S3_PKT4_S3_S6_S3_S6_S3_S6_PS1_21rocsparse_index_base_S8_S8_S8_bb,"axG",@progbits,_ZN9rocsparseL35csrgemm_symbolic_fill_block_per_rowILj1024ELj64ELj32768ELj137ELj64EllEEvT5_PKS1_S3_PKT4_S3_S6_S3_S6_S3_S6_PS1_21rocsparse_index_base_S8_S8_S8_bb,comdat
.Lfunc_end67:
	.size	_ZN9rocsparseL35csrgemm_symbolic_fill_block_per_rowILj1024ELj64ELj32768ELj137ELj64EllEEvT5_PKS1_S3_PKT4_S3_S6_S3_S6_S3_S6_PS1_21rocsparse_index_base_S8_S8_S8_bb, .Lfunc_end67-_ZN9rocsparseL35csrgemm_symbolic_fill_block_per_rowILj1024ELj64ELj32768ELj137ELj64EllEEvT5_PKS1_S3_PKT4_S3_S6_S3_S6_S3_S6_PS1_21rocsparse_index_base_S8_S8_S8_bb
                                        ; -- End function
	.set _ZN9rocsparseL35csrgemm_symbolic_fill_block_per_rowILj1024ELj64ELj32768ELj137ELj64EllEEvT5_PKS1_S3_PKT4_S3_S6_S3_S6_S3_S6_PS1_21rocsparse_index_base_S8_S8_S8_bb.num_vgpr, 19
	.set _ZN9rocsparseL35csrgemm_symbolic_fill_block_per_rowILj1024ELj64ELj32768ELj137ELj64EllEEvT5_PKS1_S3_PKT4_S3_S6_S3_S6_S3_S6_PS1_21rocsparse_index_base_S8_S8_S8_bb.num_agpr, 0
	.set _ZN9rocsparseL35csrgemm_symbolic_fill_block_per_rowILj1024ELj64ELj32768ELj137ELj64EllEEvT5_PKS1_S3_PKT4_S3_S6_S3_S6_S3_S6_PS1_21rocsparse_index_base_S8_S8_S8_bb.numbered_sgpr, 44
	.set _ZN9rocsparseL35csrgemm_symbolic_fill_block_per_rowILj1024ELj64ELj32768ELj137ELj64EllEEvT5_PKS1_S3_PKT4_S3_S6_S3_S6_S3_S6_PS1_21rocsparse_index_base_S8_S8_S8_bb.num_named_barrier, 0
	.set _ZN9rocsparseL35csrgemm_symbolic_fill_block_per_rowILj1024ELj64ELj32768ELj137ELj64EllEEvT5_PKS1_S3_PKT4_S3_S6_S3_S6_S3_S6_PS1_21rocsparse_index_base_S8_S8_S8_bb.private_seg_size, 0
	.set _ZN9rocsparseL35csrgemm_symbolic_fill_block_per_rowILj1024ELj64ELj32768ELj137ELj64EllEEvT5_PKS1_S3_PKT4_S3_S6_S3_S6_S3_S6_PS1_21rocsparse_index_base_S8_S8_S8_bb.uses_vcc, 1
	.set _ZN9rocsparseL35csrgemm_symbolic_fill_block_per_rowILj1024ELj64ELj32768ELj137ELj64EllEEvT5_PKS1_S3_PKT4_S3_S6_S3_S6_S3_S6_PS1_21rocsparse_index_base_S8_S8_S8_bb.uses_flat_scratch, 0
	.set _ZN9rocsparseL35csrgemm_symbolic_fill_block_per_rowILj1024ELj64ELj32768ELj137ELj64EllEEvT5_PKS1_S3_PKT4_S3_S6_S3_S6_S3_S6_PS1_21rocsparse_index_base_S8_S8_S8_bb.has_dyn_sized_stack, 0
	.set _ZN9rocsparseL35csrgemm_symbolic_fill_block_per_rowILj1024ELj64ELj32768ELj137ELj64EllEEvT5_PKS1_S3_PKT4_S3_S6_S3_S6_S3_S6_PS1_21rocsparse_index_base_S8_S8_S8_bb.has_recursion, 0
	.set _ZN9rocsparseL35csrgemm_symbolic_fill_block_per_rowILj1024ELj64ELj32768ELj137ELj64EllEEvT5_PKS1_S3_PKT4_S3_S6_S3_S6_S3_S6_PS1_21rocsparse_index_base_S8_S8_S8_bb.has_indirect_call, 0
	.section	.AMDGPU.csdata,"",@progbits
; Kernel info:
; codeLenInByte = 2960
; TotalNumSgprs: 46
; NumVgprs: 19
; ScratchSize: 0
; MemoryBound: 0
; FloatMode: 240
; IeeeMode: 1
; LDSByteSize: 0 bytes/workgroup (compile time only)
; SGPRBlocks: 0
; VGPRBlocks: 1
; NumSGPRsForWavesPerEU: 46
; NumVGPRsForWavesPerEU: 19
; NamedBarCnt: 0
; Occupancy: 16
; WaveLimiterHint : 1
; COMPUTE_PGM_RSRC2:SCRATCH_EN: 0
; COMPUTE_PGM_RSRC2:USER_SGPR: 2
; COMPUTE_PGM_RSRC2:TRAP_HANDLER: 0
; COMPUTE_PGM_RSRC2:TGID_X_EN: 1
; COMPUTE_PGM_RSRC2:TGID_Y_EN: 0
; COMPUTE_PGM_RSRC2:TGID_Z_EN: 0
; COMPUTE_PGM_RSRC2:TIDIG_COMP_CNT: 0
	.section	.text._ZN9rocsparseL45csrgemm_symbolic_fill_block_per_row_multipassILj512ELj16ELj2048ELj32EllEEvT4_PKS1_S3_PKT3_S3_S6_S3_S6_S3_S6_PS1_PS4_21rocsparse_index_base_S9_S9_S9_bb,"axG",@progbits,_ZN9rocsparseL45csrgemm_symbolic_fill_block_per_row_multipassILj512ELj16ELj2048ELj32EllEEvT4_PKS1_S3_PKT3_S3_S6_S3_S6_S3_S6_PS1_PS4_21rocsparse_index_base_S9_S9_S9_bb,comdat
	.globl	_ZN9rocsparseL45csrgemm_symbolic_fill_block_per_row_multipassILj512ELj16ELj2048ELj32EllEEvT4_PKS1_S3_PKT3_S3_S6_S3_S6_S3_S6_PS1_PS4_21rocsparse_index_base_S9_S9_S9_bb ; -- Begin function _ZN9rocsparseL45csrgemm_symbolic_fill_block_per_row_multipassILj512ELj16ELj2048ELj32EllEEvT4_PKS1_S3_PKT3_S3_S6_S3_S6_S3_S6_PS1_PS4_21rocsparse_index_base_S9_S9_S9_bb
	.p2align	8
	.type	_ZN9rocsparseL45csrgemm_symbolic_fill_block_per_row_multipassILj512ELj16ELj2048ELj32EllEEvT4_PKS1_S3_PKT3_S3_S6_S3_S6_S3_S6_PS1_PS4_21rocsparse_index_base_S9_S9_S9_bb,@function
_ZN9rocsparseL45csrgemm_symbolic_fill_block_per_row_multipassILj512ELj16ELj2048ELj32EllEEvT4_PKS1_S3_PKT3_S3_S6_S3_S6_S3_S6_PS1_PS4_21rocsparse_index_base_S9_S9_S9_bb: ; @_ZN9rocsparseL45csrgemm_symbolic_fill_block_per_row_multipassILj512ELj16ELj2048ELj32EllEEvT4_PKS1_S3_PKT3_S3_S6_S3_S6_S3_S6_PS1_PS4_21rocsparse_index_base_S9_S9_S9_bb
; %bb.0:
	s_clause 0x2
	s_load_b128 s[12:15], s[0:1], 0x8
	s_load_b32 s10, s[0:1], 0x70
	s_load_b64 s[6:7], s[0:1], 0x18
	s_getreg_b32 s5, hwreg(HW_REG_IB_STS2, 6, 4)
	s_mov_b32 s9, 0
	s_mov_b64 s[22:23], 0
	s_wait_kmcnt 0x0
	s_load_b64 s[2:3], s[12:13], 0x0
	s_load_b128 s[44:47], s[0:1], 0x60
	s_bitcmp1_b32 s10, 0
	s_cselect_b32 s20, -1, 0
	s_bfe_u32 s4, ttmp6, 0x4000c
	s_and_b32 s8, ttmp6, 15
	s_add_co_i32 s4, s4, 1
	s_delay_alu instid0(SALU_CYCLE_1) | instskip(NEXT) | instid1(SALU_CYCLE_1)
	s_mul_i32 s4, ttmp9, s4
	s_add_co_i32 s8, s8, s4
	s_wait_kmcnt 0x0
	s_lshl_b64 s[2:3], s[2:3], 3
	s_cmp_eq_u32 s5, 0
	s_add_nc_u64 s[2:3], s[14:15], s[2:3]
	s_cselect_b32 s4, ttmp9, s8
	s_bitcmp0_b32 s10, 0
	s_load_b64 s[2:3], s[2:3], s4 offset:0x0 scale_offset
	s_wait_xcnt 0x0
	s_mov_b64 s[4:5], 0
	s_cbranch_scc0 .LBB68_3
; %bb.1:
	s_and_not1_b32 vcc_lo, exec_lo, s20
	s_cbranch_vccz .LBB68_4
.LBB68_2:
	s_load_b64 s[34:35], s[0:1], 0x0
	s_wait_kmcnt 0x0
	v_cmp_lt_i64_e64 s6, s[34:35], 1
	s_and_b32 vcc_lo, exec_lo, s6
	s_cbranch_vccz .LBB68_5
	s_branch .LBB68_64
.LBB68_3:
	s_wait_kmcnt 0x0
	s_lshl_b64 s[4:5], s[2:3], 3
	s_mov_b32 s8, s44
	s_add_nc_u64 s[4:5], s[6:7], s[4:5]
	s_load_b64 s[4:5], s[4:5], 0x0
	s_wait_kmcnt 0x0
	s_sub_nc_u64 s[4:5], s[4:5], s[8:9]
	s_and_not1_b32 vcc_lo, exec_lo, s20
	s_cbranch_vccnz .LBB68_2
.LBB68_4:
	s_wait_kmcnt 0x0
	s_lshl_b64 s[8:9], s[2:3], 3
	s_delay_alu instid0(SALU_CYCLE_1)
	s_add_nc_u64 s[6:7], s[6:7], s[8:9]
	s_mov_b32 s9, 0
	s_load_b64 s[6:7], s[6:7], 0x8
	s_mov_b32 s8, s44
	s_wait_kmcnt 0x0
	s_sub_nc_u64 s[22:23], s[6:7], s[8:9]
	s_load_b64 s[34:35], s[0:1], 0x0
	s_wait_kmcnt 0x0
	v_cmp_lt_i64_e64 s6, s[34:35], 1
	s_and_b32 vcc_lo, exec_lo, s6
	s_cbranch_vccnz .LBB68_64
.LBB68_5:
	s_clause 0x1
	s_load_b256 s[24:31], s[0:1], 0x40
	s_load_b256 s[36:43], s[0:1], 0x20
	v_mbcnt_lo_u32_b32 v8, -1, 0
	s_bitcmp1_b32 s10, 8
	v_dual_lshrrev_b32 v2, 4, v0 :: v_dual_bitop2_b32 v1, 15, v0 bitop3:0x40
	s_cselect_b32 s33, -1, 0
	s_delay_alu instid0(VALU_DEP_2)
	v_xor_b32_e32 v11, 4, v8
	v_xor_b32_e32 v9, 8, v8
	s_lshl_b64 s[50:51], s[2:3], 3
	v_dual_mov_b32 v3, 0 :: v_dual_lshrrev_b32 v10, 3, v0
	s_wait_xcnt 0x0
	v_cmp_eq_u32_e64 s1, 15, v1
	v_cmp_gt_i32_e32 vcc_lo, 32, v9
	s_mov_b32 s19, 0
	v_add_nc_u64_e32 v[4:5], s[4:5], v[2:3]
	v_dual_mov_b32 v2, v1 :: v_dual_mov_b32 v1, v3
	v_dual_cndmask_b32 v9, v8, v9, vcc_lo :: v_dual_bitop2_b32 v13, 1, v8 bitop3:0x14
	s_wait_kmcnt 0x0
	s_add_nc_u64 s[2:3], s[26:27], s[50:51]
	v_cmp_gt_i32_e32 vcc_lo, 32, v11
	s_load_b64 s[2:3], s[2:3], 0x0
	v_dual_lshlrev_b32 v9, 2, v9 :: v_dual_bitop2_b32 v12, 2, v8 bitop3:0x14
	s_mov_b32 s18, s46
	v_dual_cndmask_b32 v11, v8, v11, vcc_lo :: v_dual_bitop2_b32 v14, 31, v8 bitop3:0x14
	s_mov_b32 s48, s47
	s_delay_alu instid0(VALU_DEP_2) | instskip(SKIP_1) | instid1(VALU_DEP_2)
	v_cmp_gt_i32_e32 vcc_lo, 32, v12
	s_mov_b32 s49, s19
	v_lshlrev_b32_e32 v36, 2, v11
	v_sub_nc_u64_e64 v[6:7], v[0:1], s[48:49]
	v_dual_cndmask_b32 v12, v8, v12, vcc_lo :: v_dual_bitop2_b32 v39, 60, v10 bitop3:0x40
	v_cmp_gt_i32_e32 vcc_lo, 32, v13
	v_add_nc_u64_e32 v[10:11], s[18:19], v[0:1]
	v_mov_b64_e32 v[16:17], 0x800
	v_cmp_eq_u32_e64 s0, 0, v0
	v_dual_mov_b32 v40, 1 :: v_dual_lshlrev_b32 v37, 2, v12
	v_cndmask_b32_e32 v8, v8, v13, vcc_lo
	v_cmp_gt_i64_e32 vcc_lo, s[22:23], v[4:5]
	s_wait_kmcnt 0x0
	s_sub_nc_u64 s[26:27], s[2:3], s[18:19]
	v_cmp_eq_u32_e64 s2, 0x1ff, v0
	v_mov_b64_e32 v[12:13], s[26:27]
	v_lshlrev_b32_e32 v38, 2, v8
	v_lshrrev_b32_e64 v8, v14, -1
	v_mov_b64_e32 v[14:15], 0
	v_cmp_gt_u32_e64 s3, 32, v0
	v_cmp_gt_u32_e64 s4, 64, v0
	;; [unrolled: 1-line block ×15, first 2 shown]
	v_or_b32_e32 v1, 0xfffffe00, v0
	s_mov_b32 s46, s45
	s_mov_b32 s45, s19
	s_mov_b32 s47, s19
	s_add_nc_u64 s[26:27], s[42:43], s[50:51]
	s_and_b32 s42, s20, vcc_lo
	s_mov_b32 s43, -1
	s_branch .LBB68_7
.LBB68_6:                               ;   in Loop: Header=BB68_7 Depth=1
	s_or_b32 exec_lo, exec_lo, s18
	ds_load_b64 v[14:15], v3 offset:10240
	s_wait_dscnt 0x0
	s_barrier_signal -1
	s_barrier_wait -1
	v_cmp_le_i64_e32 vcc_lo, s[34:35], v[14:15]
	v_add_nc_u64_e32 v[16:17], 0x800, v[14:15]
	s_cbranch_vccnz .LBB68_64
.LBB68_7:                               ; =>This Loop Header: Depth=1
                                        ;     Child Loop BB68_16 Depth 2
                                        ;       Child Loop BB68_22 Depth 3
                                        ;     Child Loop BB68_43 Depth 2
                                        ;     Child Loop BB68_55 Depth 2
	;; [unrolled: 1-line block ×3, first 2 shown]
	s_and_saveexec_b32 s18, s43
	s_cbranch_execnz .LBB68_34
; %bb.8:                                ;   in Loop: Header=BB68_7 Depth=1
	s_or_b32 exec_lo, exec_lo, s18
	s_and_saveexec_b32 s18, s43
	s_cbranch_execnz .LBB68_35
.LBB68_9:                               ;   in Loop: Header=BB68_7 Depth=1
	s_or_b32 exec_lo, exec_lo, s18
	s_and_saveexec_b32 s18, s43
	s_cbranch_execnz .LBB68_36
.LBB68_10:                              ;   in Loop: Header=BB68_7 Depth=1
	s_or_b32 exec_lo, exec_lo, s18
	s_and_saveexec_b32 s18, s43
	s_cbranch_execnz .LBB68_37
.LBB68_11:                              ;   in Loop: Header=BB68_7 Depth=1
	s_or_b32 exec_lo, exec_lo, s18
	s_and_saveexec_b32 s18, s0
.LBB68_12:                              ;   in Loop: Header=BB68_7 Depth=1
	v_mov_b64_e32 v[18:19], s[34:35]
	ds_store_b64 v3, v[18:19] offset:10240
.LBB68_13:                              ;   in Loop: Header=BB68_7 Depth=1
	s_or_b32 exec_lo, exec_lo, s18
	v_mov_b64_e32 v[18:19], s[34:35]
	s_wait_dscnt 0x0
	s_barrier_signal -1
	s_barrier_wait -1
	s_and_saveexec_b32 s21, s42
	s_cbranch_execz .LBB68_39
; %bb.14:                               ;   in Loop: Header=BB68_7 Depth=1
	v_cmp_ne_u64_e64 s18, 0, v[14:15]
	v_mov_b64_e32 v[18:19], s[34:35]
	v_mov_b64_e32 v[20:21], v[4:5]
	s_mov_b32 s50, 0
	s_branch .LBB68_16
.LBB68_15:                              ;   in Loop: Header=BB68_16 Depth=2
	s_wait_xcnt 0x0
	s_or_b32 exec_lo, exec_lo, s19
	v_add_nc_u64_e32 v[20:21], 32, v[20:21]
	s_delay_alu instid0(VALU_DEP_1) | instskip(SKIP_1) | instid1(SALU_CYCLE_1)
	v_cmp_le_i64_e32 vcc_lo, s[22:23], v[20:21]
	s_or_b32 s50, vcc_lo, s50
	s_and_not1_b32 exec_lo, exec_lo, s50
	s_cbranch_execz .LBB68_38
.LBB68_16:                              ;   Parent Loop BB68_7 Depth=1
                                        ; =>  This Loop Header: Depth=2
                                        ;       Child Loop BB68_22 Depth 3
	s_delay_alu instid0(VALU_DEP_1)
	v_lshl_add_u64 v[22:23], v[20:21], 3, s[36:37]
	s_and_b32 vcc_lo, exec_lo, s18
	s_wait_dscnt 0x0
	global_load_b64 v[26:27], v[22:23], off
	s_wait_xcnt 0x0
	v_lshl_add_u64 v[22:23], v[20:21], 3, s[30:31]
	s_cbranch_vccz .LBB68_33
; %bb.17:                               ;   in Loop: Header=BB68_16 Depth=2
	global_load_b64 v[24:25], v[22:23], off
	s_wait_loadcnt 0x1
	v_sub_nc_u64_e64 v[26:27], v[26:27], s[44:45]
	s_delay_alu instid0(VALU_DEP_1)
	v_lshl_add_u64 v[26:27], v[26:27], 3, s[38:39]
	s_cbranch_execnz .LBB68_19
.LBB68_18:                              ;   in Loop: Header=BB68_16 Depth=2
	s_wait_loadcnt 0x0
	global_load_b64 v[24:25], v[26:27], off
	s_wait_loadcnt 0x0
	v_sub_nc_u64_e64 v[24:25], v[24:25], s[46:47]
.LBB68_19:                              ;   in Loop: Header=BB68_16 Depth=2
	global_load_b64 v[26:27], v[26:27], off offset:8
	s_wait_loadcnt 0x1
	v_add_nc_u64_e32 v[24:25], v[24:25], v[2:3]
	s_mov_b32 s51, exec_lo
	s_wait_loadcnt 0x0
	s_wait_xcnt 0x0
	v_sub_nc_u64_e64 v[26:27], v[26:27], s[46:47]
	s_delay_alu instid0(VALU_DEP_1)
	v_cmpx_lt_i64_e64 v[24:25], v[26:27]
	s_cbranch_execz .LBB68_31
; %bb.20:                               ;   in Loop: Header=BB68_16 Depth=2
	v_mov_b64_e32 v[34:35], v[24:25]
	v_lshl_add_u64 v[28:29], v[24:25], 3, s[40:41]
	s_mov_b32 s53, 0
                                        ; implicit-def: $sgpr52
                                        ; implicit-def: $sgpr54
	s_branch .LBB68_22
.LBB68_21:                              ;   in Loop: Header=BB68_22 Depth=3
	s_or_b32 exec_lo, exec_lo, s55
	s_delay_alu instid0(SALU_CYCLE_1) | instskip(NEXT) | instid1(SALU_CYCLE_1)
	s_and_b32 s19, exec_lo, s20
	s_or_b32 s53, s19, s53
	s_and_not1_b32 s19, s52, exec_lo
	s_and_b32 s20, s54, exec_lo
	s_delay_alu instid0(SALU_CYCLE_1)
	s_or_b32 s52, s19, s20
	s_and_not1_b32 exec_lo, exec_lo, s53
	s_cbranch_execz .LBB68_28
.LBB68_22:                              ;   Parent Loop BB68_7 Depth=1
                                        ;     Parent Loop BB68_16 Depth=2
                                        ; =>    This Inner Loop Header: Depth=3
	global_load_b64 v[30:31], v[28:29], off
	v_mov_b64_e32 v[32:33], v[34:35]
	s_wait_loadcnt 0x0
	v_sub_nc_u64_e64 v[30:31], v[30:31], s[46:47]
	s_delay_alu instid0(VALU_DEP_1)
	v_cmp_lt_i64_e64 s19, v[30:31], v[14:15]
	v_cmp_ge_i64_e64 s20, v[30:31], v[16:17]
	v_cmp_lt_i64_e32 vcc_lo, v[30:31], v[16:17]
	s_or_b32 s20, s19, s20
	s_mov_b32 s19, 0
	s_wait_xcnt 0x0
	s_and_saveexec_b32 s55, s20
	s_delay_alu instid0(SALU_CYCLE_1)
	s_xor_b32 s20, exec_lo, s55
; %bb.23:                               ;   in Loop: Header=BB68_22 Depth=3
	s_and_b32 s19, vcc_lo, exec_lo
; %bb.24:                               ;   in Loop: Header=BB68_22 Depth=3
	s_and_not1_saveexec_b32 s20, s20
; %bb.25:                               ;   in Loop: Header=BB68_22 Depth=3
	v_sub_nc_u32_e32 v34, v30, v14
	s_or_b32 s19, s19, exec_lo
	ds_store_b8 v34, v40 offset:8192
; %bb.26:                               ;   in Loop: Header=BB68_22 Depth=3
	s_or_b32 exec_lo, exec_lo, s20
	s_mov_b32 s20, -1
	s_or_b32 s54, s54, exec_lo
                                        ; implicit-def: $vgpr34_vgpr35
	s_and_saveexec_b32 s55, s19
	s_cbranch_execz .LBB68_21
; %bb.27:                               ;   in Loop: Header=BB68_22 Depth=3
	v_add_nc_u64_e32 v[34:35], 16, v[32:33]
	v_add_nc_u64_e32 v[28:29], 0x80, v[28:29]
	s_and_not1_b32 s54, s54, exec_lo
	s_delay_alu instid0(VALU_DEP_2)
	v_cmp_ge_i64_e32 vcc_lo, v[34:35], v[26:27]
	s_or_not1_b32 s20, vcc_lo, exec_lo
	s_branch .LBB68_21
.LBB68_28:                              ;   in Loop: Header=BB68_16 Depth=2
	s_or_b32 exec_lo, exec_lo, s53
	s_and_saveexec_b32 s19, s52
	s_delay_alu instid0(SALU_CYCLE_1)
	s_xor_b32 s19, exec_lo, s19
	s_cbranch_execz .LBB68_30
; %bb.29:                               ;   in Loop: Header=BB68_16 Depth=2
	v_min_i64 v[18:19], v[30:31], v[18:19]
	v_mov_b64_e32 v[24:25], v[32:33]
.LBB68_30:                              ;   in Loop: Header=BB68_16 Depth=2
	s_or_b32 exec_lo, exec_lo, s19
.LBB68_31:                              ;   in Loop: Header=BB68_16 Depth=2
	s_delay_alu instid0(SALU_CYCLE_1)
	s_or_b32 exec_lo, exec_lo, s51
	ds_bpermute_b32 v26, v9, v24
	ds_bpermute_b32 v27, v9, v25
	s_wait_dscnt 0x0
	v_min_i64 v[24:25], v[26:27], v[24:25]
	ds_bpermute_b32 v26, v36, v24
	ds_bpermute_b32 v27, v36, v25
	s_wait_dscnt 0x0
	v_min_i64 v[24:25], v[26:27], v[24:25]
	;; [unrolled: 4-line block ×3, first 2 shown]
	ds_bpermute_b32 v26, v38, v24
	ds_bpermute_b32 v27, v38, v25
	s_and_saveexec_b32 s19, s1
	s_cbranch_execz .LBB68_15
; %bb.32:                               ;   in Loop: Header=BB68_16 Depth=2
	s_wait_dscnt 0x0
	v_min_i64 v[24:25], v[26:27], v[24:25]
	global_store_b64 v[22:23], v[24:25], off
	s_branch .LBB68_15
.LBB68_33:                              ;   in Loop: Header=BB68_16 Depth=2
                                        ; implicit-def: $vgpr24_vgpr25
	s_wait_loadcnt 0x0
	v_sub_nc_u64_e64 v[26:27], v[26:27], s[44:45]
	s_delay_alu instid0(VALU_DEP_1)
	v_lshl_add_u64 v[26:27], v[26:27], 3, s[38:39]
	s_branch .LBB68_18
.LBB68_34:                              ;   in Loop: Header=BB68_7 Depth=1
	ds_store_b8 v0, v3 offset:8192
	s_or_b32 exec_lo, exec_lo, s18
	s_and_saveexec_b32 s18, s43
	s_cbranch_execz .LBB68_9
.LBB68_35:                              ;   in Loop: Header=BB68_7 Depth=1
	ds_store_b8 v0, v3 offset:8704
	s_or_b32 exec_lo, exec_lo, s18
	s_and_saveexec_b32 s18, s43
	s_cbranch_execz .LBB68_10
.LBB68_36:                              ;   in Loop: Header=BB68_7 Depth=1
	ds_store_b8 v0, v3 offset:9216
	s_or_b32 exec_lo, exec_lo, s18
	s_and_saveexec_b32 s18, s43
	s_cbranch_execz .LBB68_11
.LBB68_37:                              ;   in Loop: Header=BB68_7 Depth=1
	ds_store_b8 v0, v3 offset:9728
	s_or_b32 exec_lo, exec_lo, s18
	s_and_saveexec_b32 s18, s0
	s_cbranch_execnz .LBB68_12
	s_branch .LBB68_13
.LBB68_38:                              ;   in Loop: Header=BB68_7 Depth=1
	s_or_b32 exec_lo, exec_lo, s50
.LBB68_39:                              ;   in Loop: Header=BB68_7 Depth=1
	s_delay_alu instid0(SALU_CYCLE_1) | instskip(NEXT) | instid1(SALU_CYCLE_1)
	s_or_b32 exec_lo, exec_lo, s21
	s_and_not1_b32 vcc_lo, exec_lo, s33
	s_cbranch_vccnz .LBB68_53
; %bb.40:                               ;   in Loop: Header=BB68_7 Depth=1
	s_load_b128 s[52:55], s[26:27], 0x0
	s_mov_b32 s50, exec_lo
	s_wait_kmcnt 0x0
	v_add_nc_u64_e32 v[20:21], s[52:53], v[6:7]
	s_sub_nc_u64 s[20:21], s[54:55], s[48:49]
	s_delay_alu instid0(VALU_DEP_1) | instid1(SALU_CYCLE_1)
	v_cmpx_gt_i64_e64 s[20:21], v[20:21]
	s_cbranch_execz .LBB68_52
; %bb.41:                               ;   in Loop: Header=BB68_7 Depth=1
	v_lshl_add_u64 v[22:23], v[20:21], 3, s[24:25]
	s_mov_b32 s51, 0
                                        ; implicit-def: $sgpr52
                                        ; implicit-def: $sgpr53
	s_branch .LBB68_43
.LBB68_42:                              ;   in Loop: Header=BB68_43 Depth=2
	s_or_b32 exec_lo, exec_lo, s54
	s_delay_alu instid0(SALU_CYCLE_1) | instskip(NEXT) | instid1(SALU_CYCLE_1)
	s_and_b32 s18, exec_lo, s19
	s_or_b32 s51, s18, s51
	s_and_not1_b32 s18, s52, exec_lo
	s_and_b32 s19, s53, exec_lo
	s_delay_alu instid0(SALU_CYCLE_1)
	s_or_b32 s52, s18, s19
	s_and_not1_b32 exec_lo, exec_lo, s51
	s_cbranch_execz .LBB68_49
.LBB68_43:                              ;   Parent Loop BB68_7 Depth=1
                                        ; =>  This Inner Loop Header: Depth=2
	global_load_b64 v[24:25], v[22:23], off
	s_wait_loadcnt 0x0
	v_sub_nc_u64_e64 v[24:25], v[24:25], s[48:49]
	s_delay_alu instid0(VALU_DEP_1)
	v_cmp_lt_i64_e64 s18, v[24:25], v[14:15]
	v_cmp_ge_i64_e64 s19, v[24:25], v[16:17]
	v_cmp_lt_i64_e32 vcc_lo, v[24:25], v[16:17]
	s_or_b32 s19, s18, s19
	s_mov_b32 s18, 0
	s_wait_xcnt 0x0
	s_and_saveexec_b32 s54, s19
	s_delay_alu instid0(SALU_CYCLE_1)
	s_xor_b32 s19, exec_lo, s54
; %bb.44:                               ;   in Loop: Header=BB68_43 Depth=2
	s_and_b32 s18, vcc_lo, exec_lo
; %bb.45:                               ;   in Loop: Header=BB68_43 Depth=2
	s_and_not1_saveexec_b32 s19, s19
	s_cbranch_execz .LBB68_47
; %bb.46:                               ;   in Loop: Header=BB68_43 Depth=2
	s_wait_dscnt 0x1
	v_sub_nc_u32_e32 v26, v24, v14
	s_or_b32 s18, s18, exec_lo
	ds_store_b8 v26, v40 offset:8192
.LBB68_47:                              ;   in Loop: Header=BB68_43 Depth=2
	s_or_b32 exec_lo, exec_lo, s19
	s_mov_b32 s19, -1
	s_or_b32 s53, s53, exec_lo
	s_and_saveexec_b32 s54, s18
	s_cbranch_execz .LBB68_42
; %bb.48:                               ;   in Loop: Header=BB68_43 Depth=2
	v_add_nc_u64_e32 v[20:21], 0x200, v[20:21]
	v_add_nc_u64_e32 v[22:23], 0x1000, v[22:23]
	s_and_not1_b32 s53, s53, exec_lo
	s_delay_alu instid0(VALU_DEP_2)
	v_cmp_le_i64_e32 vcc_lo, s[20:21], v[20:21]
	s_or_not1_b32 s19, vcc_lo, exec_lo
	s_branch .LBB68_42
.LBB68_49:                              ;   in Loop: Header=BB68_7 Depth=1
	s_or_b32 exec_lo, exec_lo, s51
	s_and_saveexec_b32 s18, s52
	s_delay_alu instid0(SALU_CYCLE_1)
	s_xor_b32 s18, exec_lo, s18
; %bb.50:                               ;   in Loop: Header=BB68_7 Depth=1
	v_min_i64 v[18:19], v[24:25], v[18:19]
; %bb.51:                               ;   in Loop: Header=BB68_7 Depth=1
	s_or_b32 exec_lo, exec_lo, s18
.LBB68_52:                              ;   in Loop: Header=BB68_7 Depth=1
	s_delay_alu instid0(SALU_CYCLE_1)
	s_or_b32 exec_lo, exec_lo, s50
.LBB68_53:                              ;   in Loop: Header=BB68_7 Depth=1
	ds_bpermute_b32 v16, v9, v18
	ds_bpermute_b32 v17, v9, v19
	s_wait_dscnt 0x0
	v_min_i64 v[16:17], v[16:17], v[18:19]
	ds_bpermute_b32 v18, v36, v16
	ds_bpermute_b32 v19, v36, v17
	s_wait_dscnt 0x0
	v_min_i64 v[16:17], v[18:19], v[16:17]
	ds_bpermute_b32 v18, v37, v16
	ds_bpermute_b32 v19, v37, v17
	s_wait_dscnt 0x0
	v_min_i64 v[16:17], v[18:19], v[16:17]
	ds_bpermute_b32 v18, v38, v16
	ds_bpermute_b32 v19, v38, v17
	s_and_saveexec_b32 s18, s1
	s_cbranch_execz .LBB68_58
; %bb.54:                               ;   in Loop: Header=BB68_7 Depth=1
	s_wait_dscnt 0x0
	v_min_i64 v[18:19], v[18:19], v[16:17]
	v_mov_b64_e32 v[16:17], -1
	s_mov_b32 s19, exec_lo
.LBB68_55:                              ;   Parent Loop BB68_7 Depth=1
                                        ; =>  This Inner Loop Header: Depth=2
	s_delay_alu instid0(SALU_CYCLE_1)
	s_ctz_i32_b32 s50, s19
	s_delay_alu instid0(VALU_DEP_2) | instid1(SALU_CYCLE_1)
	v_readlane_b32 s21, v19, s50
	s_delay_alu instid0(VALU_DEP_3) | instskip(NEXT) | instid1(VALU_DEP_1)
	v_readlane_b32 s20, v18, s50
	v_min_u64 v[16:17], v[16:17], s[20:21]
	s_lshl_b32 s20, 1, s50
	s_delay_alu instid0(SALU_CYCLE_1) | instskip(NEXT) | instid1(SALU_CYCLE_1)
	s_and_not1_b32 s19, s19, s20
	s_cmp_lg_u32 s19, 0
	s_cbranch_scc1 .LBB68_55
; %bb.56:                               ;   in Loop: Header=BB68_7 Depth=1
	v_mbcnt_lo_u32_b32 v18, exec_lo, 0
	s_mov_b32 s19, exec_lo
	s_delay_alu instid0(VALU_DEP_1)
	v_cmpx_eq_u32_e32 0, v18
	s_xor_b32 s19, exec_lo, s19
; %bb.57:                               ;   in Loop: Header=BB68_7 Depth=1
	ds_min_u64 v3, v[16:17] offset:10240
.LBB68_58:                              ;   in Loop: Header=BB68_7 Depth=1
	s_or_b32 exec_lo, exec_lo, s18
	v_add_nc_u64_e32 v[14:15], v[10:11], v[14:15]
	s_wait_dscnt 0x1
	v_mov_b32_e32 v18, v1
	s_mov_b32 s18, 0
	s_wait_storecnt_dscnt 0x0
	s_barrier_signal -1
	s_barrier_wait -1
	s_branch .LBB68_60
.LBB68_59:                              ;   in Loop: Header=BB68_60 Depth=2
	s_or_b32 exec_lo, exec_lo, s19
	s_wait_storecnt_dscnt 0x0
	s_barrier_signal -1
	s_barrier_wait -1
	ds_load_b32 v16, v3 offset:60
	v_add_nc_u32_e32 v18, 0x200, v18
	v_add_nc_u64_e32 v[14:15], 0x200, v[14:15]
	s_delay_alu instid0(VALU_DEP_2) | instskip(SKIP_3) | instid1(VALU_DEP_1)
	v_cmp_lt_u32_e32 vcc_lo, 0x5ff, v18
	s_or_b32 s18, vcc_lo, s18
	s_wait_dscnt 0x0
	v_ashrrev_i32_e32 v17, 31, v16
	v_add_nc_u64_e32 v[12:13], v[12:13], v[16:17]
	s_and_not1_b32 exec_lo, exec_lo, s18
	s_cbranch_execz .LBB68_6
.LBB68_60:                              ;   Parent Loop BB68_7 Depth=1
                                        ; =>  This Inner Loop Header: Depth=2
	ds_load_u8 v16, v18 offset:8704
	s_wait_dscnt 0x0
	s_barrier_signal -1
	s_barrier_wait -1
	v_cmp_ne_u16_e32 vcc_lo, 0, v16
	s_bcnt1_i32_b32 s19, vcc_lo
	s_delay_alu instid0(SALU_CYCLE_1)
	v_mov_b32_e32 v17, s19
	s_mov_b32 s19, exec_lo
	ds_store_b32 v39, v17
	s_wait_dscnt 0x0
	s_barrier_signal -1
	s_barrier_wait -1
	ds_load_b128 v[20:23], v3
	ds_load_b128 v[24:27], v3 offset:16
	v_and_b32_e32 v17, vcc_lo, v8
	ds_load_b128 v[28:31], v3 offset:32
	s_wait_dscnt 0x2
	v_cndmask_b32_e64 v19, v20, 0, s3
	v_cndmask_b32_e64 v32, v21, 0, s4
	;; [unrolled: 1-line block ×3, first 2 shown]
	ds_load_b96 v[20:22], v3 offset:48
	v_bcnt_u32_b32 v17, v17, v19
	v_cndmask_b32_e64 v19, v23, 0, s6
	s_wait_dscnt 0x2
	v_cndmask_b32_e64 v23, v24, 0, s7
	v_cndmask_b32_e64 v24, v25, 0, s8
	;; [unrolled: 1-line block ×3, first 2 shown]
	v_add3_u32 v17, v17, v32, v33
	s_delay_alu instid0(VALU_DEP_1) | instskip(SKIP_3) | instid1(VALU_DEP_3)
	v_add3_u32 v17, v17, v19, v23
	v_cndmask_b32_e64 v19, v27, 0, s10
	s_wait_dscnt 0x1
	v_cndmask_b32_e64 v23, v28, 0, s11
	v_add3_u32 v17, v17, v24, v25
	v_cndmask_b32_e64 v24, v29, 0, s12
	v_cndmask_b32_e64 v25, v30, 0, s13
	s_wait_dscnt 0x0
	v_cndmask_b32_e64 v20, v20, 0, s15
	v_cndmask_b32_e64 v21, v21, 0, s16
	v_add3_u32 v17, v17, v19, v23
	v_cndmask_b32_e64 v19, v31, 0, s14
	v_cndmask_b32_e64 v22, v22, 0, s17
	s_delay_alu instid0(VALU_DEP_3) | instskip(NEXT) | instid1(VALU_DEP_1)
	v_add3_u32 v17, v17, v24, v25
	v_add3_u32 v17, v17, v19, v20
	v_and_b32_e32 v19, 1, v16
	s_delay_alu instid0(VALU_DEP_2) | instskip(NEXT) | instid1(VALU_DEP_2)
	v_add3_u32 v16, v17, v21, v22
	v_cmpx_eq_u32_e32 1, v19
	s_cbranch_execz .LBB68_62
; %bb.61:                               ;   in Loop: Header=BB68_60 Depth=2
	v_lshl_add_u64 v[20:21], v[12:13], 3, s[28:29]
	s_delay_alu instid0(VALU_DEP_3) | instskip(NEXT) | instid1(VALU_DEP_1)
	v_ashrrev_i32_e32 v17, 31, v16
	v_lshl_add_u64 v[20:21], v[16:17], 3, v[20:21]
	global_store_b64 v[20:21], v[14:15], off offset:-8
.LBB68_62:                              ;   in Loop: Header=BB68_60 Depth=2
	s_wait_xcnt 0x0
	s_or_b32 exec_lo, exec_lo, s19
	s_and_saveexec_b32 s19, s2
	s_cbranch_execz .LBB68_59
; %bb.63:                               ;   in Loop: Header=BB68_60 Depth=2
	ds_store_b32 v3, v16 offset:60
	s_branch .LBB68_59
.LBB68_64:
	s_endpgm
	.section	.rodata,"a",@progbits
	.p2align	6, 0x0
	.amdhsa_kernel _ZN9rocsparseL45csrgemm_symbolic_fill_block_per_row_multipassILj512ELj16ELj2048ELj32EllEEvT4_PKS1_S3_PKT3_S3_S6_S3_S6_S3_S6_PS1_PS4_21rocsparse_index_base_S9_S9_S9_bb
		.amdhsa_group_segment_fixed_size 10248
		.amdhsa_private_segment_fixed_size 0
		.amdhsa_kernarg_size 116
		.amdhsa_user_sgpr_count 2
		.amdhsa_user_sgpr_dispatch_ptr 0
		.amdhsa_user_sgpr_queue_ptr 0
		.amdhsa_user_sgpr_kernarg_segment_ptr 1
		.amdhsa_user_sgpr_dispatch_id 0
		.amdhsa_user_sgpr_kernarg_preload_length 0
		.amdhsa_user_sgpr_kernarg_preload_offset 0
		.amdhsa_user_sgpr_private_segment_size 0
		.amdhsa_wavefront_size32 1
		.amdhsa_uses_dynamic_stack 0
		.amdhsa_enable_private_segment 0
		.amdhsa_system_sgpr_workgroup_id_x 1
		.amdhsa_system_sgpr_workgroup_id_y 0
		.amdhsa_system_sgpr_workgroup_id_z 0
		.amdhsa_system_sgpr_workgroup_info 0
		.amdhsa_system_vgpr_workitem_id 0
		.amdhsa_next_free_vgpr 41
		.amdhsa_next_free_sgpr 56
		.amdhsa_named_barrier_count 0
		.amdhsa_reserve_vcc 1
		.amdhsa_float_round_mode_32 0
		.amdhsa_float_round_mode_16_64 0
		.amdhsa_float_denorm_mode_32 3
		.amdhsa_float_denorm_mode_16_64 3
		.amdhsa_fp16_overflow 0
		.amdhsa_memory_ordered 1
		.amdhsa_forward_progress 1
		.amdhsa_inst_pref_size 21
		.amdhsa_round_robin_scheduling 0
		.amdhsa_exception_fp_ieee_invalid_op 0
		.amdhsa_exception_fp_denorm_src 0
		.amdhsa_exception_fp_ieee_div_zero 0
		.amdhsa_exception_fp_ieee_overflow 0
		.amdhsa_exception_fp_ieee_underflow 0
		.amdhsa_exception_fp_ieee_inexact 0
		.amdhsa_exception_int_div_zero 0
	.end_amdhsa_kernel
	.section	.text._ZN9rocsparseL45csrgemm_symbolic_fill_block_per_row_multipassILj512ELj16ELj2048ELj32EllEEvT4_PKS1_S3_PKT3_S3_S6_S3_S6_S3_S6_PS1_PS4_21rocsparse_index_base_S9_S9_S9_bb,"axG",@progbits,_ZN9rocsparseL45csrgemm_symbolic_fill_block_per_row_multipassILj512ELj16ELj2048ELj32EllEEvT4_PKS1_S3_PKT3_S3_S6_S3_S6_S3_S6_PS1_PS4_21rocsparse_index_base_S9_S9_S9_bb,comdat
.Lfunc_end68:
	.size	_ZN9rocsparseL45csrgemm_symbolic_fill_block_per_row_multipassILj512ELj16ELj2048ELj32EllEEvT4_PKS1_S3_PKT3_S3_S6_S3_S6_S3_S6_PS1_PS4_21rocsparse_index_base_S9_S9_S9_bb, .Lfunc_end68-_ZN9rocsparseL45csrgemm_symbolic_fill_block_per_row_multipassILj512ELj16ELj2048ELj32EllEEvT4_PKS1_S3_PKT3_S3_S6_S3_S6_S3_S6_PS1_PS4_21rocsparse_index_base_S9_S9_S9_bb
                                        ; -- End function
	.set _ZN9rocsparseL45csrgemm_symbolic_fill_block_per_row_multipassILj512ELj16ELj2048ELj32EllEEvT4_PKS1_S3_PKT3_S3_S6_S3_S6_S3_S6_PS1_PS4_21rocsparse_index_base_S9_S9_S9_bb.num_vgpr, 41
	.set _ZN9rocsparseL45csrgemm_symbolic_fill_block_per_row_multipassILj512ELj16ELj2048ELj32EllEEvT4_PKS1_S3_PKT3_S3_S6_S3_S6_S3_S6_PS1_PS4_21rocsparse_index_base_S9_S9_S9_bb.num_agpr, 0
	.set _ZN9rocsparseL45csrgemm_symbolic_fill_block_per_row_multipassILj512ELj16ELj2048ELj32EllEEvT4_PKS1_S3_PKT3_S3_S6_S3_S6_S3_S6_PS1_PS4_21rocsparse_index_base_S9_S9_S9_bb.numbered_sgpr, 56
	.set _ZN9rocsparseL45csrgemm_symbolic_fill_block_per_row_multipassILj512ELj16ELj2048ELj32EllEEvT4_PKS1_S3_PKT3_S3_S6_S3_S6_S3_S6_PS1_PS4_21rocsparse_index_base_S9_S9_S9_bb.num_named_barrier, 0
	.set _ZN9rocsparseL45csrgemm_symbolic_fill_block_per_row_multipassILj512ELj16ELj2048ELj32EllEEvT4_PKS1_S3_PKT3_S3_S6_S3_S6_S3_S6_PS1_PS4_21rocsparse_index_base_S9_S9_S9_bb.private_seg_size, 0
	.set _ZN9rocsparseL45csrgemm_symbolic_fill_block_per_row_multipassILj512ELj16ELj2048ELj32EllEEvT4_PKS1_S3_PKT3_S3_S6_S3_S6_S3_S6_PS1_PS4_21rocsparse_index_base_S9_S9_S9_bb.uses_vcc, 1
	.set _ZN9rocsparseL45csrgemm_symbolic_fill_block_per_row_multipassILj512ELj16ELj2048ELj32EllEEvT4_PKS1_S3_PKT3_S3_S6_S3_S6_S3_S6_PS1_PS4_21rocsparse_index_base_S9_S9_S9_bb.uses_flat_scratch, 0
	.set _ZN9rocsparseL45csrgemm_symbolic_fill_block_per_row_multipassILj512ELj16ELj2048ELj32EllEEvT4_PKS1_S3_PKT3_S3_S6_S3_S6_S3_S6_PS1_PS4_21rocsparse_index_base_S9_S9_S9_bb.has_dyn_sized_stack, 0
	.set _ZN9rocsparseL45csrgemm_symbolic_fill_block_per_row_multipassILj512ELj16ELj2048ELj32EllEEvT4_PKS1_S3_PKT3_S3_S6_S3_S6_S3_S6_PS1_PS4_21rocsparse_index_base_S9_S9_S9_bb.has_recursion, 0
	.set _ZN9rocsparseL45csrgemm_symbolic_fill_block_per_row_multipassILj512ELj16ELj2048ELj32EllEEvT4_PKS1_S3_PKT3_S3_S6_S3_S6_S3_S6_PS1_PS4_21rocsparse_index_base_S9_S9_S9_bb.has_indirect_call, 0
	.section	.AMDGPU.csdata,"",@progbits
; Kernel info:
; codeLenInByte = 2676
; TotalNumSgprs: 58
; NumVgprs: 41
; ScratchSize: 0
; MemoryBound: 0
; FloatMode: 240
; IeeeMode: 1
; LDSByteSize: 10248 bytes/workgroup (compile time only)
; SGPRBlocks: 0
; VGPRBlocks: 2
; NumSGPRsForWavesPerEU: 58
; NumVGPRsForWavesPerEU: 41
; NamedBarCnt: 0
; Occupancy: 16
; WaveLimiterHint : 1
; COMPUTE_PGM_RSRC2:SCRATCH_EN: 0
; COMPUTE_PGM_RSRC2:USER_SGPR: 2
; COMPUTE_PGM_RSRC2:TRAP_HANDLER: 0
; COMPUTE_PGM_RSRC2:TGID_X_EN: 1
; COMPUTE_PGM_RSRC2:TGID_Y_EN: 0
; COMPUTE_PGM_RSRC2:TGID_Z_EN: 0
; COMPUTE_PGM_RSRC2:TIDIG_COMP_CNT: 0
	.section	.text._ZN9rocsparseL45csrgemm_symbolic_fill_block_per_row_multipassILj512ELj16ELj2048ELj64EllEEvT4_PKS1_S3_PKT3_S3_S6_S3_S6_S3_S6_PS1_PS4_21rocsparse_index_base_S9_S9_S9_bb,"axG",@progbits,_ZN9rocsparseL45csrgemm_symbolic_fill_block_per_row_multipassILj512ELj16ELj2048ELj64EllEEvT4_PKS1_S3_PKT3_S3_S6_S3_S6_S3_S6_PS1_PS4_21rocsparse_index_base_S9_S9_S9_bb,comdat
	.globl	_ZN9rocsparseL45csrgemm_symbolic_fill_block_per_row_multipassILj512ELj16ELj2048ELj64EllEEvT4_PKS1_S3_PKT3_S3_S6_S3_S6_S3_S6_PS1_PS4_21rocsparse_index_base_S9_S9_S9_bb ; -- Begin function _ZN9rocsparseL45csrgemm_symbolic_fill_block_per_row_multipassILj512ELj16ELj2048ELj64EllEEvT4_PKS1_S3_PKT3_S3_S6_S3_S6_S3_S6_PS1_PS4_21rocsparse_index_base_S9_S9_S9_bb
	.p2align	8
	.type	_ZN9rocsparseL45csrgemm_symbolic_fill_block_per_row_multipassILj512ELj16ELj2048ELj64EllEEvT4_PKS1_S3_PKT3_S3_S6_S3_S6_S3_S6_PS1_PS4_21rocsparse_index_base_S9_S9_S9_bb,@function
_ZN9rocsparseL45csrgemm_symbolic_fill_block_per_row_multipassILj512ELj16ELj2048ELj64EllEEvT4_PKS1_S3_PKT3_S3_S6_S3_S6_S3_S6_PS1_PS4_21rocsparse_index_base_S9_S9_S9_bb: ; @_ZN9rocsparseL45csrgemm_symbolic_fill_block_per_row_multipassILj512ELj16ELj2048ELj64EllEEvT4_PKS1_S3_PKT3_S3_S6_S3_S6_S3_S6_PS1_PS4_21rocsparse_index_base_S9_S9_S9_bb
; %bb.0:
	s_clause 0x2
	s_load_b128 s[12:15], s[0:1], 0x8
	s_load_b32 s11, s[0:1], 0x70
	s_load_b64 s[6:7], s[0:1], 0x18
	s_getreg_b32 s5, hwreg(HW_REG_IB_STS2, 6, 4)
	s_mov_b32 s9, 0
	s_wait_kmcnt 0x0
	s_load_b64 s[2:3], s[12:13], 0x0
	s_load_b128 s[36:39], s[0:1], 0x60
	s_bitcmp1_b32 s11, 0
	s_cselect_b32 s10, -1, 0
	s_bfe_u32 s4, ttmp6, 0x4000c
	s_and_b32 s8, ttmp6, 15
	s_add_co_i32 s4, s4, 1
	s_delay_alu instid0(SALU_CYCLE_1) | instskip(NEXT) | instid1(SALU_CYCLE_1)
	s_mul_i32 s4, ttmp9, s4
	s_add_co_i32 s8, s8, s4
	s_wait_kmcnt 0x0
	s_lshl_b64 s[2:3], s[2:3], 3
	s_cmp_eq_u32 s5, 0
	s_add_nc_u64 s[2:3], s[14:15], s[2:3]
	s_cselect_b32 s4, ttmp9, s8
	s_mov_b64 s[14:15], 0
	s_load_b64 s[4:5], s[2:3], s4 offset:0x0 scale_offset
	s_bitcmp0_b32 s11, 0
	s_wait_xcnt 0x0
	s_mov_b64 s[2:3], 0
	s_cbranch_scc0 .LBB69_3
; %bb.1:
	s_and_not1_b32 vcc_lo, exec_lo, s10
	s_cbranch_vccz .LBB69_4
.LBB69_2:
	s_load_b64 s[34:35], s[0:1], 0x0
	s_wait_kmcnt 0x0
	v_cmp_lt_i64_e64 s6, s[34:35], 1
	s_and_b32 vcc_lo, exec_lo, s6
	s_cbranch_vccz .LBB69_5
	s_branch .LBB69_64
.LBB69_3:
	s_wait_kmcnt 0x0
	s_lshl_b64 s[2:3], s[4:5], 3
	s_mov_b32 s8, s36
	s_add_nc_u64 s[2:3], s[6:7], s[2:3]
	s_load_b64 s[2:3], s[2:3], 0x0
	s_wait_kmcnt 0x0
	s_sub_nc_u64 s[2:3], s[2:3], s[8:9]
	s_and_not1_b32 vcc_lo, exec_lo, s10
	s_cbranch_vccnz .LBB69_2
.LBB69_4:
	s_wait_kmcnt 0x0
	s_lshl_b64 s[8:9], s[4:5], 3
	s_delay_alu instid0(SALU_CYCLE_1)
	s_add_nc_u64 s[6:7], s[6:7], s[8:9]
	s_mov_b32 s9, 0
	s_load_b64 s[6:7], s[6:7], 0x8
	s_mov_b32 s8, s36
	s_wait_kmcnt 0x0
	s_sub_nc_u64 s[14:15], s[6:7], s[8:9]
	s_load_b64 s[34:35], s[0:1], 0x0
	s_wait_kmcnt 0x0
	v_cmp_lt_i64_e64 s6, s[34:35], 1
	s_and_b32 vcc_lo, exec_lo, s6
	s_cbranch_vccnz .LBB69_64
.LBB69_5:
	s_clause 0x1
	s_load_b256 s[16:23], s[0:1], 0x40
	s_load_b256 s[24:31], s[0:1], 0x20
	v_mbcnt_lo_u32_b32 v6, -1, 0
	v_mov_b32_e32 v3, 0
	s_bitcmp1_b32 s11, 8
	v_dual_lshrrev_b32 v10, 4, v0 :: v_dual_bitop2_b32 v2, 15, v0 bitop3:0x40
	s_delay_alu instid0(VALU_DEP_3) | instskip(SKIP_3) | instid1(VALU_DEP_2)
	v_xor_b32_e32 v7, 8, v6
	s_cselect_b32 s33, -1, 0
	s_lshl_b64 s[42:43], s[4:5], 3
	v_dual_mov_b32 v11, v3 :: v_dual_mov_b32 v1, v3
	v_cmp_gt_i32_e32 vcc_lo, 32, v7
	v_xor_b32_e32 v8, 4, v6
	s_mov_b32 s13, 0
	s_delay_alu instid0(VALU_DEP_3)
	v_add_nc_u64_e32 v[4:5], s[2:3], v[10:11]
	s_mov_b32 s12, s38
	v_cndmask_b32_e32 v11, v6, v7, vcc_lo
	v_cmp_gt_i32_e32 vcc_lo, 32, v8
	v_xor_b32_e32 v9, 2, v6
	s_wait_kmcnt 0x0
	s_add_nc_u64 s[4:5], s[18:19], s[42:43]
	s_mov_b32 s40, s39
	s_load_b64 s[4:5], s[4:5], 0x0
	v_cndmask_b32_e32 v8, v6, v8, vcc_lo
	v_cmp_gt_i32_e32 vcc_lo, 32, v9
	v_xor_b32_e32 v12, 1, v6
	s_mov_b32 s41, s13
	v_dual_mov_b32 v40, 1 :: v_dual_bitop2_b32 v39, 28, v10 bitop3:0x40
	v_cndmask_b32_e32 v14, v6, v9, vcc_lo
	s_delay_alu instid0(VALU_DEP_3)
	v_cmp_gt_i32_e32 vcc_lo, 32, v12
	v_dual_lshlrev_b32 v9, 2, v11 :: v_dual_bitop2_b32 v13, 31, v6 bitop3:0x14
	v_lshlrev_b32_e32 v36, 2, v8
	v_add_nc_u64_e32 v[10:11], s[12:13], v[0:1]
	v_cndmask_b32_e32 v12, v6, v12, vcc_lo
	v_cmp_gt_i64_e32 vcc_lo, s[14:15], v[4:5]
	v_sub_nc_u64_e64 v[6:7], v[0:1], s[40:41]
	v_lshlrev_b32_e32 v37, 2, v14
	v_lshrrev_b32_e64 v8, v13, -1
	v_lshlrev_b32_e32 v38, 2, v12
	v_mov_b64_e32 v[14:15], 0
	s_wait_kmcnt 0x0
	s_sub_nc_u64 s[18:19], s[4:5], s[12:13]
	v_mov_b64_e32 v[16:17], 0x800
	v_mov_b64_e32 v[12:13], s[18:19]
	v_cmp_eq_u32_e64 s0, 0, v0
	v_cmp_eq_u32_e64 s1, 15, v2
	;; [unrolled: 1-line block ×3, first 2 shown]
	v_cmp_gt_u32_e64 s3, 64, v0
	v_cmp_gt_u32_e64 s4, 0x80, v0
	;; [unrolled: 1-line block ×7, first 2 shown]
	v_or_b32_e32 v1, 0xfffffe00, v0
	s_mov_b32 s38, s37
	s_mov_b32 s37, s13
	;; [unrolled: 1-line block ×3, first 2 shown]
	s_add_nc_u64 s[18:19], s[30:31], s[42:43]
	s_and_b32 s30, s10, vcc_lo
	s_mov_b32 s31, -1
	s_branch .LBB69_7
.LBB69_6:                               ;   in Loop: Header=BB69_7 Depth=1
	s_or_b32 exec_lo, exec_lo, s10
	ds_load_b64 v[14:15], v3 offset:10240
	s_wait_dscnt 0x0
	s_barrier_signal -1
	s_barrier_wait -1
	v_cmp_le_i64_e32 vcc_lo, s[34:35], v[14:15]
	v_add_nc_u64_e32 v[16:17], 0x800, v[14:15]
	s_cbranch_vccnz .LBB69_64
.LBB69_7:                               ; =>This Loop Header: Depth=1
                                        ;     Child Loop BB69_16 Depth 2
                                        ;       Child Loop BB69_22 Depth 3
                                        ;     Child Loop BB69_43 Depth 2
                                        ;     Child Loop BB69_55 Depth 2
	;; [unrolled: 1-line block ×3, first 2 shown]
	s_and_saveexec_b32 s10, s31
	s_cbranch_execnz .LBB69_34
; %bb.8:                                ;   in Loop: Header=BB69_7 Depth=1
	s_or_b32 exec_lo, exec_lo, s10
	s_and_saveexec_b32 s10, s31
	s_cbranch_execnz .LBB69_35
.LBB69_9:                               ;   in Loop: Header=BB69_7 Depth=1
	s_or_b32 exec_lo, exec_lo, s10
	s_and_saveexec_b32 s10, s31
	s_cbranch_execnz .LBB69_36
.LBB69_10:                              ;   in Loop: Header=BB69_7 Depth=1
	s_or_b32 exec_lo, exec_lo, s10
	s_and_saveexec_b32 s10, s31
	s_cbranch_execnz .LBB69_37
.LBB69_11:                              ;   in Loop: Header=BB69_7 Depth=1
	s_or_b32 exec_lo, exec_lo, s10
	s_and_saveexec_b32 s10, s0
.LBB69_12:                              ;   in Loop: Header=BB69_7 Depth=1
	v_mov_b64_e32 v[18:19], s[34:35]
	ds_store_b64 v3, v[18:19] offset:10240
.LBB69_13:                              ;   in Loop: Header=BB69_7 Depth=1
	s_or_b32 exec_lo, exec_lo, s10
	v_mov_b64_e32 v[18:19], s[34:35]
	s_wait_dscnt 0x0
	s_barrier_signal -1
	s_barrier_wait -1
	s_and_saveexec_b32 s13, s30
	s_cbranch_execz .LBB69_39
; %bb.14:                               ;   in Loop: Header=BB69_7 Depth=1
	v_cmp_ne_u64_e64 s10, 0, v[14:15]
	v_mov_b64_e32 v[18:19], s[34:35]
	v_mov_b64_e32 v[20:21], v[4:5]
	s_mov_b32 s42, 0
	s_branch .LBB69_16
.LBB69_15:                              ;   in Loop: Header=BB69_16 Depth=2
	s_wait_xcnt 0x0
	s_or_b32 exec_lo, exec_lo, s11
	v_add_nc_u64_e32 v[20:21], 32, v[20:21]
	s_delay_alu instid0(VALU_DEP_1) | instskip(SKIP_1) | instid1(SALU_CYCLE_1)
	v_cmp_le_i64_e32 vcc_lo, s[14:15], v[20:21]
	s_or_b32 s42, vcc_lo, s42
	s_and_not1_b32 exec_lo, exec_lo, s42
	s_cbranch_execz .LBB69_38
.LBB69_16:                              ;   Parent Loop BB69_7 Depth=1
                                        ; =>  This Loop Header: Depth=2
                                        ;       Child Loop BB69_22 Depth 3
	s_delay_alu instid0(VALU_DEP_1)
	v_lshl_add_u64 v[22:23], v[20:21], 3, s[24:25]
	s_and_b32 vcc_lo, exec_lo, s10
	s_wait_dscnt 0x0
	global_load_b64 v[26:27], v[22:23], off
	s_wait_xcnt 0x0
	v_lshl_add_u64 v[22:23], v[20:21], 3, s[22:23]
	s_cbranch_vccz .LBB69_33
; %bb.17:                               ;   in Loop: Header=BB69_16 Depth=2
	global_load_b64 v[24:25], v[22:23], off
	s_wait_loadcnt 0x1
	v_sub_nc_u64_e64 v[26:27], v[26:27], s[36:37]
	s_delay_alu instid0(VALU_DEP_1)
	v_lshl_add_u64 v[26:27], v[26:27], 3, s[26:27]
	s_cbranch_execnz .LBB69_19
.LBB69_18:                              ;   in Loop: Header=BB69_16 Depth=2
	s_wait_loadcnt 0x0
	global_load_b64 v[24:25], v[26:27], off
	s_wait_loadcnt 0x0
	v_sub_nc_u64_e64 v[24:25], v[24:25], s[38:39]
.LBB69_19:                              ;   in Loop: Header=BB69_16 Depth=2
	global_load_b64 v[26:27], v[26:27], off offset:8
	s_wait_loadcnt 0x1
	v_add_nc_u64_e32 v[24:25], v[24:25], v[2:3]
	s_mov_b32 s43, exec_lo
	s_wait_loadcnt 0x0
	s_wait_xcnt 0x0
	v_sub_nc_u64_e64 v[26:27], v[26:27], s[38:39]
	s_delay_alu instid0(VALU_DEP_1)
	v_cmpx_lt_i64_e64 v[24:25], v[26:27]
	s_cbranch_execz .LBB69_31
; %bb.20:                               ;   in Loop: Header=BB69_16 Depth=2
	v_mov_b64_e32 v[34:35], v[24:25]
	v_lshl_add_u64 v[28:29], v[24:25], 3, s[28:29]
	s_mov_b32 s45, 0
                                        ; implicit-def: $sgpr44
                                        ; implicit-def: $sgpr46
	s_branch .LBB69_22
.LBB69_21:                              ;   in Loop: Header=BB69_22 Depth=3
	s_or_b32 exec_lo, exec_lo, s47
	s_delay_alu instid0(SALU_CYCLE_1) | instskip(NEXT) | instid1(SALU_CYCLE_1)
	s_and_b32 s11, exec_lo, s12
	s_or_b32 s45, s11, s45
	s_and_not1_b32 s11, s44, exec_lo
	s_and_b32 s12, s46, exec_lo
	s_delay_alu instid0(SALU_CYCLE_1)
	s_or_b32 s44, s11, s12
	s_and_not1_b32 exec_lo, exec_lo, s45
	s_cbranch_execz .LBB69_28
.LBB69_22:                              ;   Parent Loop BB69_7 Depth=1
                                        ;     Parent Loop BB69_16 Depth=2
                                        ; =>    This Inner Loop Header: Depth=3
	global_load_b64 v[30:31], v[28:29], off
	v_mov_b64_e32 v[32:33], v[34:35]
	s_wait_loadcnt 0x0
	v_sub_nc_u64_e64 v[30:31], v[30:31], s[38:39]
	s_delay_alu instid0(VALU_DEP_1)
	v_cmp_lt_i64_e64 s11, v[30:31], v[14:15]
	v_cmp_ge_i64_e64 s12, v[30:31], v[16:17]
	v_cmp_lt_i64_e32 vcc_lo, v[30:31], v[16:17]
	s_or_b32 s12, s11, s12
	s_mov_b32 s11, 0
	s_wait_xcnt 0x0
	s_and_saveexec_b32 s47, s12
	s_delay_alu instid0(SALU_CYCLE_1)
	s_xor_b32 s12, exec_lo, s47
; %bb.23:                               ;   in Loop: Header=BB69_22 Depth=3
	s_and_b32 s11, vcc_lo, exec_lo
; %bb.24:                               ;   in Loop: Header=BB69_22 Depth=3
	s_and_not1_saveexec_b32 s12, s12
; %bb.25:                               ;   in Loop: Header=BB69_22 Depth=3
	v_sub_nc_u32_e32 v34, v30, v14
	s_or_b32 s11, s11, exec_lo
	ds_store_b8 v34, v40 offset:8192
; %bb.26:                               ;   in Loop: Header=BB69_22 Depth=3
	s_or_b32 exec_lo, exec_lo, s12
	s_mov_b32 s12, -1
	s_or_b32 s46, s46, exec_lo
                                        ; implicit-def: $vgpr34_vgpr35
	s_and_saveexec_b32 s47, s11
	s_cbranch_execz .LBB69_21
; %bb.27:                               ;   in Loop: Header=BB69_22 Depth=3
	v_add_nc_u64_e32 v[34:35], 16, v[32:33]
	v_add_nc_u64_e32 v[28:29], 0x80, v[28:29]
	s_and_not1_b32 s46, s46, exec_lo
	s_delay_alu instid0(VALU_DEP_2)
	v_cmp_ge_i64_e32 vcc_lo, v[34:35], v[26:27]
	s_or_not1_b32 s12, vcc_lo, exec_lo
	s_branch .LBB69_21
.LBB69_28:                              ;   in Loop: Header=BB69_16 Depth=2
	s_or_b32 exec_lo, exec_lo, s45
	s_and_saveexec_b32 s11, s44
	s_delay_alu instid0(SALU_CYCLE_1)
	s_xor_b32 s11, exec_lo, s11
	s_cbranch_execz .LBB69_30
; %bb.29:                               ;   in Loop: Header=BB69_16 Depth=2
	v_min_i64 v[18:19], v[30:31], v[18:19]
	v_mov_b64_e32 v[24:25], v[32:33]
.LBB69_30:                              ;   in Loop: Header=BB69_16 Depth=2
	s_or_b32 exec_lo, exec_lo, s11
.LBB69_31:                              ;   in Loop: Header=BB69_16 Depth=2
	s_delay_alu instid0(SALU_CYCLE_1)
	s_or_b32 exec_lo, exec_lo, s43
	ds_bpermute_b32 v26, v9, v24
	ds_bpermute_b32 v27, v9, v25
	s_wait_dscnt 0x0
	v_min_i64 v[24:25], v[26:27], v[24:25]
	ds_bpermute_b32 v26, v36, v24
	ds_bpermute_b32 v27, v36, v25
	s_wait_dscnt 0x0
	v_min_i64 v[24:25], v[26:27], v[24:25]
	ds_bpermute_b32 v26, v37, v24
	ds_bpermute_b32 v27, v37, v25
	s_wait_dscnt 0x0
	v_min_i64 v[24:25], v[26:27], v[24:25]
	ds_bpermute_b32 v26, v38, v24
	ds_bpermute_b32 v27, v38, v25
	s_and_saveexec_b32 s11, s1
	s_cbranch_execz .LBB69_15
; %bb.32:                               ;   in Loop: Header=BB69_16 Depth=2
	s_wait_dscnt 0x0
	v_min_i64 v[24:25], v[26:27], v[24:25]
	global_store_b64 v[22:23], v[24:25], off
	s_branch .LBB69_15
.LBB69_33:                              ;   in Loop: Header=BB69_16 Depth=2
                                        ; implicit-def: $vgpr24_vgpr25
	s_wait_loadcnt 0x0
	v_sub_nc_u64_e64 v[26:27], v[26:27], s[36:37]
	s_delay_alu instid0(VALU_DEP_1)
	v_lshl_add_u64 v[26:27], v[26:27], 3, s[26:27]
	s_branch .LBB69_18
.LBB69_34:                              ;   in Loop: Header=BB69_7 Depth=1
	ds_store_b8 v0, v3 offset:8192
	s_or_b32 exec_lo, exec_lo, s10
	s_and_saveexec_b32 s10, s31
	s_cbranch_execz .LBB69_9
.LBB69_35:                              ;   in Loop: Header=BB69_7 Depth=1
	ds_store_b8 v0, v3 offset:8704
	s_or_b32 exec_lo, exec_lo, s10
	s_and_saveexec_b32 s10, s31
	s_cbranch_execz .LBB69_10
.LBB69_36:                              ;   in Loop: Header=BB69_7 Depth=1
	ds_store_b8 v0, v3 offset:9216
	s_or_b32 exec_lo, exec_lo, s10
	s_and_saveexec_b32 s10, s31
	s_cbranch_execz .LBB69_11
.LBB69_37:                              ;   in Loop: Header=BB69_7 Depth=1
	ds_store_b8 v0, v3 offset:9728
	s_or_b32 exec_lo, exec_lo, s10
	s_and_saveexec_b32 s10, s0
	s_cbranch_execnz .LBB69_12
	s_branch .LBB69_13
.LBB69_38:                              ;   in Loop: Header=BB69_7 Depth=1
	s_or_b32 exec_lo, exec_lo, s42
.LBB69_39:                              ;   in Loop: Header=BB69_7 Depth=1
	s_delay_alu instid0(SALU_CYCLE_1) | instskip(NEXT) | instid1(SALU_CYCLE_1)
	s_or_b32 exec_lo, exec_lo, s13
	s_and_not1_b32 vcc_lo, exec_lo, s33
	s_cbranch_vccnz .LBB69_53
; %bb.40:                               ;   in Loop: Header=BB69_7 Depth=1
	s_load_b128 s[44:47], s[18:19], 0x0
	s_mov_b32 s42, exec_lo
	s_wait_kmcnt 0x0
	v_add_nc_u64_e32 v[20:21], s[44:45], v[6:7]
	s_sub_nc_u64 s[12:13], s[46:47], s[40:41]
	s_delay_alu instid0(VALU_DEP_1) | instid1(SALU_CYCLE_1)
	v_cmpx_gt_i64_e64 s[12:13], v[20:21]
	s_cbranch_execz .LBB69_52
; %bb.41:                               ;   in Loop: Header=BB69_7 Depth=1
	v_lshl_add_u64 v[22:23], v[20:21], 3, s[16:17]
	s_mov_b32 s43, 0
                                        ; implicit-def: $sgpr44
                                        ; implicit-def: $sgpr45
	s_branch .LBB69_43
.LBB69_42:                              ;   in Loop: Header=BB69_43 Depth=2
	s_or_b32 exec_lo, exec_lo, s46
	s_delay_alu instid0(SALU_CYCLE_1) | instskip(NEXT) | instid1(SALU_CYCLE_1)
	s_and_b32 s10, exec_lo, s11
	s_or_b32 s43, s10, s43
	s_and_not1_b32 s10, s44, exec_lo
	s_and_b32 s11, s45, exec_lo
	s_delay_alu instid0(SALU_CYCLE_1)
	s_or_b32 s44, s10, s11
	s_and_not1_b32 exec_lo, exec_lo, s43
	s_cbranch_execz .LBB69_49
.LBB69_43:                              ;   Parent Loop BB69_7 Depth=1
                                        ; =>  This Inner Loop Header: Depth=2
	global_load_b64 v[24:25], v[22:23], off
	s_wait_loadcnt 0x0
	v_sub_nc_u64_e64 v[24:25], v[24:25], s[40:41]
	s_delay_alu instid0(VALU_DEP_1)
	v_cmp_lt_i64_e64 s10, v[24:25], v[14:15]
	v_cmp_ge_i64_e64 s11, v[24:25], v[16:17]
	v_cmp_lt_i64_e32 vcc_lo, v[24:25], v[16:17]
	s_or_b32 s11, s10, s11
	s_mov_b32 s10, 0
	s_wait_xcnt 0x0
	s_and_saveexec_b32 s46, s11
	s_delay_alu instid0(SALU_CYCLE_1)
	s_xor_b32 s11, exec_lo, s46
; %bb.44:                               ;   in Loop: Header=BB69_43 Depth=2
	s_and_b32 s10, vcc_lo, exec_lo
; %bb.45:                               ;   in Loop: Header=BB69_43 Depth=2
	s_and_not1_saveexec_b32 s11, s11
	s_cbranch_execz .LBB69_47
; %bb.46:                               ;   in Loop: Header=BB69_43 Depth=2
	s_wait_dscnt 0x1
	v_sub_nc_u32_e32 v26, v24, v14
	s_or_b32 s10, s10, exec_lo
	ds_store_b8 v26, v40 offset:8192
.LBB69_47:                              ;   in Loop: Header=BB69_43 Depth=2
	s_or_b32 exec_lo, exec_lo, s11
	s_mov_b32 s11, -1
	s_or_b32 s45, s45, exec_lo
	s_and_saveexec_b32 s46, s10
	s_cbranch_execz .LBB69_42
; %bb.48:                               ;   in Loop: Header=BB69_43 Depth=2
	v_add_nc_u64_e32 v[20:21], 0x200, v[20:21]
	v_add_nc_u64_e32 v[22:23], 0x1000, v[22:23]
	s_and_not1_b32 s45, s45, exec_lo
	s_delay_alu instid0(VALU_DEP_2)
	v_cmp_le_i64_e32 vcc_lo, s[12:13], v[20:21]
	s_or_not1_b32 s11, vcc_lo, exec_lo
	s_branch .LBB69_42
.LBB69_49:                              ;   in Loop: Header=BB69_7 Depth=1
	s_or_b32 exec_lo, exec_lo, s43
	s_and_saveexec_b32 s10, s44
	s_delay_alu instid0(SALU_CYCLE_1)
	s_xor_b32 s10, exec_lo, s10
; %bb.50:                               ;   in Loop: Header=BB69_7 Depth=1
	v_min_i64 v[18:19], v[24:25], v[18:19]
; %bb.51:                               ;   in Loop: Header=BB69_7 Depth=1
	s_or_b32 exec_lo, exec_lo, s10
.LBB69_52:                              ;   in Loop: Header=BB69_7 Depth=1
	s_delay_alu instid0(SALU_CYCLE_1)
	s_or_b32 exec_lo, exec_lo, s42
.LBB69_53:                              ;   in Loop: Header=BB69_7 Depth=1
	ds_bpermute_b32 v16, v9, v18
	ds_bpermute_b32 v17, v9, v19
	s_wait_dscnt 0x0
	v_min_i64 v[16:17], v[16:17], v[18:19]
	ds_bpermute_b32 v18, v36, v16
	ds_bpermute_b32 v19, v36, v17
	s_wait_dscnt 0x0
	v_min_i64 v[16:17], v[18:19], v[16:17]
	;; [unrolled: 4-line block ×3, first 2 shown]
	ds_bpermute_b32 v18, v38, v16
	ds_bpermute_b32 v19, v38, v17
	s_and_saveexec_b32 s10, s1
	s_cbranch_execz .LBB69_58
; %bb.54:                               ;   in Loop: Header=BB69_7 Depth=1
	s_wait_dscnt 0x0
	v_min_i64 v[18:19], v[18:19], v[16:17]
	v_mov_b64_e32 v[16:17], -1
	s_mov_b32 s11, exec_lo
.LBB69_55:                              ;   Parent Loop BB69_7 Depth=1
                                        ; =>  This Inner Loop Header: Depth=2
	s_delay_alu instid0(SALU_CYCLE_1)
	s_ctz_i32_b32 s42, s11
	s_delay_alu instid0(VALU_DEP_2) | instid1(SALU_CYCLE_1)
	v_readlane_b32 s13, v19, s42
	s_delay_alu instid0(VALU_DEP_3) | instskip(NEXT) | instid1(VALU_DEP_1)
	v_readlane_b32 s12, v18, s42
	v_min_u64 v[16:17], v[16:17], s[12:13]
	s_lshl_b32 s12, 1, s42
	s_delay_alu instid0(SALU_CYCLE_1) | instskip(NEXT) | instid1(SALU_CYCLE_1)
	s_and_not1_b32 s11, s11, s12
	s_cmp_lg_u32 s11, 0
	s_cbranch_scc1 .LBB69_55
; %bb.56:                               ;   in Loop: Header=BB69_7 Depth=1
	v_mbcnt_lo_u32_b32 v18, exec_lo, 0
	s_mov_b32 s11, exec_lo
	s_delay_alu instid0(VALU_DEP_1)
	v_cmpx_eq_u32_e32 0, v18
	s_xor_b32 s11, exec_lo, s11
; %bb.57:                               ;   in Loop: Header=BB69_7 Depth=1
	ds_min_u64 v3, v[16:17] offset:10240
.LBB69_58:                              ;   in Loop: Header=BB69_7 Depth=1
	s_or_b32 exec_lo, exec_lo, s10
	v_add_nc_u64_e32 v[14:15], v[10:11], v[14:15]
	s_wait_dscnt 0x1
	v_mov_b32_e32 v18, v1
	s_mov_b32 s10, 0
	s_wait_storecnt_dscnt 0x0
	s_barrier_signal -1
	s_barrier_wait -1
	s_branch .LBB69_60
.LBB69_59:                              ;   in Loop: Header=BB69_60 Depth=2
	s_or_b32 exec_lo, exec_lo, s11
	s_wait_storecnt_dscnt 0x0
	s_barrier_signal -1
	s_barrier_wait -1
	ds_load_b32 v16, v3 offset:28
	v_add_nc_u32_e32 v18, 0x200, v18
	v_add_nc_u64_e32 v[14:15], 0x200, v[14:15]
	s_delay_alu instid0(VALU_DEP_2) | instskip(SKIP_3) | instid1(VALU_DEP_1)
	v_cmp_lt_u32_e32 vcc_lo, 0x5ff, v18
	s_or_b32 s10, vcc_lo, s10
	s_wait_dscnt 0x0
	v_ashrrev_i32_e32 v17, 31, v16
	v_add_nc_u64_e32 v[12:13], v[12:13], v[16:17]
	s_and_not1_b32 exec_lo, exec_lo, s10
	s_cbranch_execz .LBB69_6
.LBB69_60:                              ;   Parent Loop BB69_7 Depth=1
                                        ; =>  This Inner Loop Header: Depth=2
	ds_load_u8 v16, v18 offset:8704
	s_wait_dscnt 0x0
	s_barrier_signal -1
	s_barrier_wait -1
	v_cmp_ne_u16_e32 vcc_lo, 0, v16
	s_bcnt1_i32_b32 s11, vcc_lo
	s_delay_alu instid0(SALU_CYCLE_1)
	v_mov_b32_e32 v17, s11
	s_mov_b32 s11, exec_lo
	ds_store_b32 v39, v17
	s_wait_dscnt 0x0
	s_barrier_signal -1
	s_barrier_wait -1
	ds_load_b128 v[20:23], v3
	ds_load_b96 v[24:26], v3 offset:16
	v_and_b32_e32 v17, vcc_lo, v8
	s_wait_dscnt 0x1
	v_cndmask_b32_e64 v19, v20, 0, s3
	v_cndmask_b32_e64 v20, v21, 0, s4
	;; [unrolled: 1-line block ×3, first 2 shown]
	s_wait_dscnt 0x0
	v_cndmask_b32_e64 v22, v24, 0, s7
	v_bcnt_u32_b32 v17, v17, v19
	v_cndmask_b32_e64 v19, v23, 0, s6
	s_delay_alu instid0(VALU_DEP_2) | instskip(SKIP_2) | instid1(VALU_DEP_3)
	v_add3_u32 v17, v17, v20, v21
	v_cndmask_b32_e64 v20, v25, 0, s8
	v_cndmask_b32_e64 v21, v26, 0, s9
	v_add3_u32 v17, v17, v19, v22
	v_and_b32_e32 v19, 1, v16
	s_delay_alu instid0(VALU_DEP_2) | instskip(NEXT) | instid1(VALU_DEP_2)
	v_add3_u32 v16, v17, v20, v21
	v_cmpx_eq_u32_e32 1, v19
	s_cbranch_execz .LBB69_62
; %bb.61:                               ;   in Loop: Header=BB69_60 Depth=2
	v_lshl_add_u64 v[20:21], v[12:13], 3, s[20:21]
	s_delay_alu instid0(VALU_DEP_3) | instskip(NEXT) | instid1(VALU_DEP_1)
	v_ashrrev_i32_e32 v17, 31, v16
	v_lshl_add_u64 v[20:21], v[16:17], 3, v[20:21]
	global_store_b64 v[20:21], v[14:15], off offset:-8
.LBB69_62:                              ;   in Loop: Header=BB69_60 Depth=2
	s_wait_xcnt 0x0
	s_or_b32 exec_lo, exec_lo, s11
	s_and_saveexec_b32 s11, s2
	s_cbranch_execz .LBB69_59
; %bb.63:                               ;   in Loop: Header=BB69_60 Depth=2
	ds_store_b32 v3, v16 offset:28
	s_branch .LBB69_59
.LBB69_64:
	s_endpgm
	.section	.rodata,"a",@progbits
	.p2align	6, 0x0
	.amdhsa_kernel _ZN9rocsparseL45csrgemm_symbolic_fill_block_per_row_multipassILj512ELj16ELj2048ELj64EllEEvT4_PKS1_S3_PKT3_S3_S6_S3_S6_S3_S6_PS1_PS4_21rocsparse_index_base_S9_S9_S9_bb
		.amdhsa_group_segment_fixed_size 10248
		.amdhsa_private_segment_fixed_size 0
		.amdhsa_kernarg_size 116
		.amdhsa_user_sgpr_count 2
		.amdhsa_user_sgpr_dispatch_ptr 0
		.amdhsa_user_sgpr_queue_ptr 0
		.amdhsa_user_sgpr_kernarg_segment_ptr 1
		.amdhsa_user_sgpr_dispatch_id 0
		.amdhsa_user_sgpr_kernarg_preload_length 0
		.amdhsa_user_sgpr_kernarg_preload_offset 0
		.amdhsa_user_sgpr_private_segment_size 0
		.amdhsa_wavefront_size32 1
		.amdhsa_uses_dynamic_stack 0
		.amdhsa_enable_private_segment 0
		.amdhsa_system_sgpr_workgroup_id_x 1
		.amdhsa_system_sgpr_workgroup_id_y 0
		.amdhsa_system_sgpr_workgroup_id_z 0
		.amdhsa_system_sgpr_workgroup_info 0
		.amdhsa_system_vgpr_workitem_id 0
		.amdhsa_next_free_vgpr 41
		.amdhsa_next_free_sgpr 48
		.amdhsa_named_barrier_count 0
		.amdhsa_reserve_vcc 1
		.amdhsa_float_round_mode_32 0
		.amdhsa_float_round_mode_16_64 0
		.amdhsa_float_denorm_mode_32 3
		.amdhsa_float_denorm_mode_16_64 3
		.amdhsa_fp16_overflow 0
		.amdhsa_memory_ordered 1
		.amdhsa_forward_progress 1
		.amdhsa_inst_pref_size 20
		.amdhsa_round_robin_scheduling 0
		.amdhsa_exception_fp_ieee_invalid_op 0
		.amdhsa_exception_fp_denorm_src 0
		.amdhsa_exception_fp_ieee_div_zero 0
		.amdhsa_exception_fp_ieee_overflow 0
		.amdhsa_exception_fp_ieee_underflow 0
		.amdhsa_exception_fp_ieee_inexact 0
		.amdhsa_exception_int_div_zero 0
	.end_amdhsa_kernel
	.section	.text._ZN9rocsparseL45csrgemm_symbolic_fill_block_per_row_multipassILj512ELj16ELj2048ELj64EllEEvT4_PKS1_S3_PKT3_S3_S6_S3_S6_S3_S6_PS1_PS4_21rocsparse_index_base_S9_S9_S9_bb,"axG",@progbits,_ZN9rocsparseL45csrgemm_symbolic_fill_block_per_row_multipassILj512ELj16ELj2048ELj64EllEEvT4_PKS1_S3_PKT3_S3_S6_S3_S6_S3_S6_PS1_PS4_21rocsparse_index_base_S9_S9_S9_bb,comdat
.Lfunc_end69:
	.size	_ZN9rocsparseL45csrgemm_symbolic_fill_block_per_row_multipassILj512ELj16ELj2048ELj64EllEEvT4_PKS1_S3_PKT3_S3_S6_S3_S6_S3_S6_PS1_PS4_21rocsparse_index_base_S9_S9_S9_bb, .Lfunc_end69-_ZN9rocsparseL45csrgemm_symbolic_fill_block_per_row_multipassILj512ELj16ELj2048ELj64EllEEvT4_PKS1_S3_PKT3_S3_S6_S3_S6_S3_S6_PS1_PS4_21rocsparse_index_base_S9_S9_S9_bb
                                        ; -- End function
	.set _ZN9rocsparseL45csrgemm_symbolic_fill_block_per_row_multipassILj512ELj16ELj2048ELj64EllEEvT4_PKS1_S3_PKT3_S3_S6_S3_S6_S3_S6_PS1_PS4_21rocsparse_index_base_S9_S9_S9_bb.num_vgpr, 41
	.set _ZN9rocsparseL45csrgemm_symbolic_fill_block_per_row_multipassILj512ELj16ELj2048ELj64EllEEvT4_PKS1_S3_PKT3_S3_S6_S3_S6_S3_S6_PS1_PS4_21rocsparse_index_base_S9_S9_S9_bb.num_agpr, 0
	.set _ZN9rocsparseL45csrgemm_symbolic_fill_block_per_row_multipassILj512ELj16ELj2048ELj64EllEEvT4_PKS1_S3_PKT3_S3_S6_S3_S6_S3_S6_PS1_PS4_21rocsparse_index_base_S9_S9_S9_bb.numbered_sgpr, 48
	.set _ZN9rocsparseL45csrgemm_symbolic_fill_block_per_row_multipassILj512ELj16ELj2048ELj64EllEEvT4_PKS1_S3_PKT3_S3_S6_S3_S6_S3_S6_PS1_PS4_21rocsparse_index_base_S9_S9_S9_bb.num_named_barrier, 0
	.set _ZN9rocsparseL45csrgemm_symbolic_fill_block_per_row_multipassILj512ELj16ELj2048ELj64EllEEvT4_PKS1_S3_PKT3_S3_S6_S3_S6_S3_S6_PS1_PS4_21rocsparse_index_base_S9_S9_S9_bb.private_seg_size, 0
	.set _ZN9rocsparseL45csrgemm_symbolic_fill_block_per_row_multipassILj512ELj16ELj2048ELj64EllEEvT4_PKS1_S3_PKT3_S3_S6_S3_S6_S3_S6_PS1_PS4_21rocsparse_index_base_S9_S9_S9_bb.uses_vcc, 1
	.set _ZN9rocsparseL45csrgemm_symbolic_fill_block_per_row_multipassILj512ELj16ELj2048ELj64EllEEvT4_PKS1_S3_PKT3_S3_S6_S3_S6_S3_S6_PS1_PS4_21rocsparse_index_base_S9_S9_S9_bb.uses_flat_scratch, 0
	.set _ZN9rocsparseL45csrgemm_symbolic_fill_block_per_row_multipassILj512ELj16ELj2048ELj64EllEEvT4_PKS1_S3_PKT3_S3_S6_S3_S6_S3_S6_PS1_PS4_21rocsparse_index_base_S9_S9_S9_bb.has_dyn_sized_stack, 0
	.set _ZN9rocsparseL45csrgemm_symbolic_fill_block_per_row_multipassILj512ELj16ELj2048ELj64EllEEvT4_PKS1_S3_PKT3_S3_S6_S3_S6_S3_S6_PS1_PS4_21rocsparse_index_base_S9_S9_S9_bb.has_recursion, 0
	.set _ZN9rocsparseL45csrgemm_symbolic_fill_block_per_row_multipassILj512ELj16ELj2048ELj64EllEEvT4_PKS1_S3_PKT3_S3_S6_S3_S6_S3_S6_PS1_PS4_21rocsparse_index_base_S9_S9_S9_bb.has_indirect_call, 0
	.section	.AMDGPU.csdata,"",@progbits
; Kernel info:
; codeLenInByte = 2452
; TotalNumSgprs: 50
; NumVgprs: 41
; ScratchSize: 0
; MemoryBound: 0
; FloatMode: 240
; IeeeMode: 1
; LDSByteSize: 10248 bytes/workgroup (compile time only)
; SGPRBlocks: 0
; VGPRBlocks: 2
; NumSGPRsForWavesPerEU: 50
; NumVGPRsForWavesPerEU: 41
; NamedBarCnt: 0
; Occupancy: 16
; WaveLimiterHint : 1
; COMPUTE_PGM_RSRC2:SCRATCH_EN: 0
; COMPUTE_PGM_RSRC2:USER_SGPR: 2
; COMPUTE_PGM_RSRC2:TRAP_HANDLER: 0
; COMPUTE_PGM_RSRC2:TGID_X_EN: 1
; COMPUTE_PGM_RSRC2:TGID_Y_EN: 0
; COMPUTE_PGM_RSRC2:TGID_Z_EN: 0
; COMPUTE_PGM_RSRC2:TIDIG_COMP_CNT: 0
	.section	.AMDGPU.gpr_maximums,"",@progbits
	.set amdgpu.max_num_vgpr, 0
	.set amdgpu.max_num_agpr, 0
	.set amdgpu.max_num_sgpr, 0
	.section	.AMDGPU.csdata,"",@progbits
	.type	__hip_cuid_a4c9182cddf7b37a,@object ; @__hip_cuid_a4c9182cddf7b37a
	.section	.bss,"aw",@nobits
	.globl	__hip_cuid_a4c9182cddf7b37a
__hip_cuid_a4c9182cddf7b37a:
	.byte	0                               ; 0x0
	.size	__hip_cuid_a4c9182cddf7b37a, 1

	.ident	"AMD clang version 22.0.0git (https://github.com/RadeonOpenCompute/llvm-project roc-7.2.4 26084 f58b06dce1f9c15707c5f808fd002e18c2accf7e)"
	.section	".note.GNU-stack","",@progbits
	.addrsig
	.addrsig_sym _ZN9rocsparse13shared_memoryE
	.addrsig_sym __hip_cuid_a4c9182cddf7b37a
	.amdgpu_metadata
---
amdhsa.kernels:
  - .args:
      - .offset:         0
        .size:           4
        .value_kind:     by_value
      - .actual_access:  read_only
        .address_space:  global
        .offset:         8
        .size:           8
        .value_kind:     global_buffer
      - .actual_access:  write_only
        .address_space:  global
        .offset:         16
        .size:           8
        .value_kind:     global_buffer
      - .offset:         24
        .size:           4
        .value_kind:     hidden_block_count_x
      - .offset:         28
        .size:           4
        .value_kind:     hidden_block_count_y
      - .offset:         32
        .size:           4
        .value_kind:     hidden_block_count_z
      - .offset:         36
        .size:           2
        .value_kind:     hidden_group_size_x
      - .offset:         38
        .size:           2
        .value_kind:     hidden_group_size_y
      - .offset:         40
        .size:           2
        .value_kind:     hidden_group_size_z
      - .offset:         42
        .size:           2
        .value_kind:     hidden_remainder_x
      - .offset:         44
        .size:           2
        .value_kind:     hidden_remainder_y
      - .offset:         46
        .size:           2
        .value_kind:     hidden_remainder_z
      - .offset:         64
        .size:           8
        .value_kind:     hidden_global_offset_x
      - .offset:         72
        .size:           8
        .value_kind:     hidden_global_offset_y
      - .offset:         80
        .size:           8
        .value_kind:     hidden_global_offset_z
      - .offset:         88
        .size:           2
        .value_kind:     hidden_grid_dims
    .group_segment_fixed_size: 1024
    .kernarg_segment_align: 8
    .kernarg_segment_size: 280
    .language:       OpenCL C
    .language_version:
      - 2
      - 0
    .max_flat_workgroup_size: 256
    .name:           _ZN9rocsparseL34csrgemm_symbolic_max_row_nnz_part1ILj256EiiEEvT1_PKT0_PS1_
    .private_segment_fixed_size: 0
    .sgpr_count:     13
    .sgpr_spill_count: 0
    .symbol:         _ZN9rocsparseL34csrgemm_symbolic_max_row_nnz_part1ILj256EiiEEvT1_PKT0_PS1_.kd
    .uniform_work_group_size: 1
    .uses_dynamic_stack: false
    .vgpr_count:     8
    .vgpr_spill_count: 0
    .wavefront_size: 32
  - .args:
      - .address_space:  global
        .offset:         0
        .size:           8
        .value_kind:     global_buffer
    .group_segment_fixed_size: 1024
    .kernarg_segment_align: 8
    .kernarg_segment_size: 8
    .language:       OpenCL C
    .language_version:
      - 2
      - 0
    .max_flat_workgroup_size: 256
    .name:           _ZN9rocsparseL34csrgemm_symbolic_max_row_nnz_part2ILj256EiEEvPT0_
    .private_segment_fixed_size: 0
    .sgpr_count:     5
    .sgpr_spill_count: 0
    .symbol:         _ZN9rocsparseL34csrgemm_symbolic_max_row_nnz_part2ILj256EiEEvPT0_.kd
    .uniform_work_group_size: 1
    .uses_dynamic_stack: false
    .vgpr_count:     4
    .vgpr_spill_count: 0
    .wavefront_size: 32
  - .args:
      - .offset:         0
        .size:           4
        .value_kind:     by_value
      - .actual_access:  read_only
        .address_space:  global
        .offset:         8
        .size:           8
        .value_kind:     global_buffer
      - .actual_access:  write_only
        .address_space:  global
        .offset:         16
        .size:           8
        .value_kind:     global_buffer
      - .actual_access:  write_only
        .address_space:  global
        .offset:         24
        .size:           8
        .value_kind:     global_buffer
      - .offset:         32
        .size:           4
        .value_kind:     by_value
      - .offset:         40
        .size:           4
        .value_kind:     hidden_block_count_x
      - .offset:         44
        .size:           4
        .value_kind:     hidden_block_count_y
      - .offset:         48
        .size:           4
        .value_kind:     hidden_block_count_z
      - .offset:         52
        .size:           2
        .value_kind:     hidden_group_size_x
      - .offset:         54
        .size:           2
        .value_kind:     hidden_group_size_y
      - .offset:         56
        .size:           2
        .value_kind:     hidden_group_size_z
      - .offset:         58
        .size:           2
        .value_kind:     hidden_remainder_x
      - .offset:         60
        .size:           2
        .value_kind:     hidden_remainder_y
      - .offset:         62
        .size:           2
        .value_kind:     hidden_remainder_z
      - .offset:         80
        .size:           8
        .value_kind:     hidden_global_offset_x
      - .offset:         88
        .size:           8
        .value_kind:     hidden_global_offset_y
      - .offset:         96
        .size:           8
        .value_kind:     hidden_global_offset_z
      - .offset:         104
        .size:           2
        .value_kind:     hidden_grid_dims
    .group_segment_fixed_size: 11264
    .kernarg_segment_align: 8
    .kernarg_segment_size: 296
    .language:       OpenCL C
    .language_version:
      - 2
      - 0
    .max_flat_workgroup_size: 256
    .name:           _ZN9rocsparseL35csrgemm_symbolic_group_reduce_part2ILj256ELj11EiiEEvT2_PKT1_PS1_Pij
    .private_segment_fixed_size: 0
    .sgpr_count:     28
    .sgpr_spill_count: 0
    .symbol:         _ZN9rocsparseL35csrgemm_symbolic_group_reduce_part2ILj256ELj11EiiEEvT2_PKT1_PS1_Pij.kd
    .uniform_work_group_size: 1
    .uses_dynamic_stack: false
    .vgpr_count:     24
    .vgpr_spill_count: 0
    .wavefront_size: 32
  - .args:
      - .address_space:  global
        .offset:         0
        .size:           8
        .value_kind:     global_buffer
    .group_segment_fixed_size: 11264
    .kernarg_segment_align: 8
    .kernarg_segment_size: 8
    .language:       OpenCL C
    .language_version:
      - 2
      - 0
    .max_flat_workgroup_size: 256
    .name:           _ZN9rocsparseL35csrgemm_symbolic_group_reduce_part3ILj256ELj11EiEEvPT1_
    .private_segment_fixed_size: 0
    .sgpr_count:     5
    .sgpr_spill_count: 0
    .symbol:         _ZN9rocsparseL35csrgemm_symbolic_group_reduce_part3ILj256ELj11EiEEvPT1_.kd
    .uniform_work_group_size: 1
    .uses_dynamic_stack: false
    .vgpr_count:     24
    .vgpr_spill_count: 0
    .wavefront_size: 32
  - .args:
      - .offset:         0
        .size:           4
        .value_kind:     by_value
      - .offset:         4
        .size:           4
        .value_kind:     by_value
      - .actual_access:  read_only
        .address_space:  global
        .offset:         8
        .size:           8
        .value_kind:     global_buffer
      - .actual_access:  read_only
        .address_space:  global
        .offset:         16
        .size:           8
        .value_kind:     global_buffer
      - .actual_access:  read_only
        .address_space:  global
        .offset:         24
        .size:           8
        .value_kind:     global_buffer
      - .actual_access:  read_only
        .address_space:  global
        .offset:         32
        .size:           8
        .value_kind:     global_buffer
      - .actual_access:  read_only
        .address_space:  global
        .offset:         40
        .size:           8
        .value_kind:     global_buffer
      - .actual_access:  read_only
        .address_space:  global
        .offset:         48
        .size:           8
        .value_kind:     global_buffer
      - .actual_access:  read_only
        .address_space:  global
        .offset:         56
        .size:           8
        .value_kind:     global_buffer
      - .actual_access:  read_only
        .address_space:  global
        .offset:         64
        .size:           8
        .value_kind:     global_buffer
      - .actual_access:  read_only
        .address_space:  global
        .offset:         72
        .size:           8
        .value_kind:     global_buffer
      - .actual_access:  write_only
        .address_space:  global
        .offset:         80
        .size:           8
        .value_kind:     global_buffer
      - .offset:         88
        .size:           4
        .value_kind:     by_value
      - .offset:         92
        .size:           4
        .value_kind:     by_value
      - .offset:         96
        .size:           4
        .value_kind:     by_value
      - .offset:         100
        .size:           4
        .value_kind:     by_value
      - .offset:         104
        .size:           1
        .value_kind:     by_value
      - .offset:         105
        .size:           1
        .value_kind:     by_value
    .group_segment_fixed_size: 2048
    .kernarg_segment_align: 8
    .kernarg_segment_size: 108
    .language:       OpenCL C
    .language_version:
      - 2
      - 0
    .max_flat_workgroup_size: 256
    .name:           _ZN9rocsparseL32csrgemm_symbolic_fill_wf_per_rowILj256ELj8ELj16ELj137EiiEEvT4_S1_PKS1_S3_PKT3_S3_S6_S3_S6_S3_S6_PS1_21rocsparse_index_base_S8_S8_S8_bb
    .private_segment_fixed_size: 0
    .sgpr_count:     25
    .sgpr_spill_count: 0
    .symbol:         _ZN9rocsparseL32csrgemm_symbolic_fill_wf_per_rowILj256ELj8ELj16ELj137EiiEEvT4_S1_PKS1_S3_PKT3_S3_S6_S3_S6_S3_S6_PS1_21rocsparse_index_base_S8_S8_S8_bb.kd
    .uniform_work_group_size: 1
    .uses_dynamic_stack: false
    .vgpr_count:     22
    .vgpr_spill_count: 0
    .wavefront_size: 32
  - .args:
      - .offset:         0
        .size:           4
        .value_kind:     by_value
      - .offset:         4
        .size:           4
        .value_kind:     by_value
      - .actual_access:  read_only
        .address_space:  global
        .offset:         8
        .size:           8
        .value_kind:     global_buffer
      - .actual_access:  read_only
        .address_space:  global
        .offset:         16
        .size:           8
        .value_kind:     global_buffer
      - .actual_access:  read_only
        .address_space:  global
        .offset:         24
        .size:           8
        .value_kind:     global_buffer
      - .actual_access:  read_only
        .address_space:  global
        .offset:         32
        .size:           8
        .value_kind:     global_buffer
      - .actual_access:  read_only
        .address_space:  global
        .offset:         40
        .size:           8
        .value_kind:     global_buffer
      - .actual_access:  read_only
        .address_space:  global
        .offset:         48
        .size:           8
        .value_kind:     global_buffer
      - .actual_access:  read_only
        .address_space:  global
        .offset:         56
        .size:           8
        .value_kind:     global_buffer
      - .actual_access:  read_only
        .address_space:  global
        .offset:         64
        .size:           8
        .value_kind:     global_buffer
      - .actual_access:  read_only
        .address_space:  global
        .offset:         72
        .size:           8
        .value_kind:     global_buffer
      - .actual_access:  write_only
        .address_space:  global
        .offset:         80
        .size:           8
        .value_kind:     global_buffer
      - .offset:         88
        .size:           4
        .value_kind:     by_value
      - .offset:         92
        .size:           4
        .value_kind:     by_value
      - .offset:         96
        .size:           4
        .value_kind:     by_value
      - .offset:         100
        .size:           4
        .value_kind:     by_value
      - .offset:         104
        .size:           1
        .value_kind:     by_value
      - .offset:         105
        .size:           1
        .value_kind:     by_value
    .group_segment_fixed_size: 2048
    .kernarg_segment_align: 8
    .kernarg_segment_size: 108
    .language:       OpenCL C
    .language_version:
      - 2
      - 0
    .max_flat_workgroup_size: 256
    .name:           _ZN9rocsparseL32csrgemm_symbolic_fill_wf_per_rowILj256ELj16ELj32ELj137EiiEEvT4_S1_PKS1_S3_PKT3_S3_S6_S3_S6_S3_S6_PS1_21rocsparse_index_base_S8_S8_S8_bb
    .private_segment_fixed_size: 0
    .sgpr_count:     25
    .sgpr_spill_count: 0
    .symbol:         _ZN9rocsparseL32csrgemm_symbolic_fill_wf_per_rowILj256ELj16ELj32ELj137EiiEEvT4_S1_PKS1_S3_PKT3_S3_S6_S3_S6_S3_S6_PS1_21rocsparse_index_base_S8_S8_S8_bb.kd
    .uniform_work_group_size: 1
    .uses_dynamic_stack: false
    .vgpr_count:     38
    .vgpr_spill_count: 0
    .wavefront_size: 32
  - .args:
      - .offset:         0
        .size:           4
        .value_kind:     by_value
      - .actual_access:  read_only
        .address_space:  global
        .offset:         8
        .size:           8
        .value_kind:     global_buffer
      - .actual_access:  read_only
        .address_space:  global
        .offset:         16
        .size:           8
        .value_kind:     global_buffer
      - .actual_access:  read_only
        .address_space:  global
        .offset:         24
        .size:           8
        .value_kind:     global_buffer
      - .actual_access:  read_only
        .address_space:  global
        .offset:         32
        .size:           8
        .value_kind:     global_buffer
      - .actual_access:  read_only
        .address_space:  global
        .offset:         40
        .size:           8
        .value_kind:     global_buffer
      - .actual_access:  read_only
        .address_space:  global
        .offset:         48
        .size:           8
        .value_kind:     global_buffer
      - .actual_access:  read_only
        .address_space:  global
        .offset:         56
        .size:           8
        .value_kind:     global_buffer
      - .actual_access:  read_only
        .address_space:  global
        .offset:         64
        .size:           8
        .value_kind:     global_buffer
      - .actual_access:  read_only
        .address_space:  global
        .offset:         72
        .size:           8
        .value_kind:     global_buffer
      - .actual_access:  write_only
        .address_space:  global
        .offset:         80
        .size:           8
        .value_kind:     global_buffer
      - .offset:         88
        .size:           4
        .value_kind:     by_value
      - .offset:         92
        .size:           4
        .value_kind:     by_value
      - .offset:         96
        .size:           4
        .value_kind:     by_value
      - .offset:         100
        .size:           4
        .value_kind:     by_value
      - .offset:         104
        .size:           1
        .value_kind:     by_value
      - .offset:         105
        .size:           1
        .value_kind:     by_value
    .group_segment_fixed_size: 0
    .kernarg_segment_align: 8
    .kernarg_segment_size: 108
    .language:       OpenCL C
    .language_version:
      - 2
      - 0
    .max_flat_workgroup_size: 128
    .name:           _ZN9rocsparseL35csrgemm_symbolic_fill_block_per_rowILj128ELj16ELj256ELj137ELj32EiiEEvT5_PKS1_S3_PKT4_S3_S6_S3_S6_S3_S6_PS1_21rocsparse_index_base_S8_S8_S8_bb
    .private_segment_fixed_size: 0
    .sgpr_count:     33
    .sgpr_spill_count: 0
    .symbol:         _ZN9rocsparseL35csrgemm_symbolic_fill_block_per_rowILj128ELj16ELj256ELj137ELj32EiiEEvT5_PKS1_S3_PKT4_S3_S6_S3_S6_S3_S6_PS1_21rocsparse_index_base_S8_S8_S8_bb.kd
    .uniform_work_group_size: 1
    .uses_dynamic_stack: false
    .vgpr_count:     20
    .vgpr_spill_count: 0
    .wavefront_size: 32
  - .args:
      - .offset:         0
        .size:           4
        .value_kind:     by_value
      - .actual_access:  read_only
        .address_space:  global
        .offset:         8
        .size:           8
        .value_kind:     global_buffer
      - .actual_access:  read_only
        .address_space:  global
        .offset:         16
        .size:           8
        .value_kind:     global_buffer
      - .actual_access:  read_only
        .address_space:  global
        .offset:         24
        .size:           8
        .value_kind:     global_buffer
      - .actual_access:  read_only
        .address_space:  global
        .offset:         32
        .size:           8
        .value_kind:     global_buffer
      - .actual_access:  read_only
        .address_space:  global
        .offset:         40
        .size:           8
        .value_kind:     global_buffer
      - .actual_access:  read_only
        .address_space:  global
        .offset:         48
        .size:           8
        .value_kind:     global_buffer
      - .actual_access:  read_only
        .address_space:  global
        .offset:         56
        .size:           8
        .value_kind:     global_buffer
      - .actual_access:  read_only
        .address_space:  global
        .offset:         64
        .size:           8
        .value_kind:     global_buffer
      - .actual_access:  read_only
        .address_space:  global
        .offset:         72
        .size:           8
        .value_kind:     global_buffer
      - .actual_access:  write_only
        .address_space:  global
        .offset:         80
        .size:           8
        .value_kind:     global_buffer
      - .offset:         88
        .size:           4
        .value_kind:     by_value
      - .offset:         92
        .size:           4
        .value_kind:     by_value
      - .offset:         96
        .size:           4
        .value_kind:     by_value
      - .offset:         100
        .size:           4
        .value_kind:     by_value
      - .offset:         104
        .size:           1
        .value_kind:     by_value
      - .offset:         105
        .size:           1
        .value_kind:     by_value
    .group_segment_fixed_size: 0
    .kernarg_segment_align: 8
    .kernarg_segment_size: 108
    .language:       OpenCL C
    .language_version:
      - 2
      - 0
    .max_flat_workgroup_size: 128
    .name:           _ZN9rocsparseL35csrgemm_symbolic_fill_block_per_rowILj128ELj16ELj256ELj137ELj64EiiEEvT5_PKS1_S3_PKT4_S3_S6_S3_S6_S3_S6_PS1_21rocsparse_index_base_S8_S8_S8_bb
    .private_segment_fixed_size: 0
    .sgpr_count:     33
    .sgpr_spill_count: 0
    .symbol:         _ZN9rocsparseL35csrgemm_symbolic_fill_block_per_rowILj128ELj16ELj256ELj137ELj64EiiEEvT5_PKS1_S3_PKT4_S3_S6_S3_S6_S3_S6_PS1_21rocsparse_index_base_S8_S8_S8_bb.kd
    .uniform_work_group_size: 1
    .uses_dynamic_stack: false
    .vgpr_count:     20
    .vgpr_spill_count: 0
    .wavefront_size: 32
  - .args:
      - .offset:         0
        .size:           4
        .value_kind:     by_value
      - .actual_access:  read_only
        .address_space:  global
        .offset:         8
        .size:           8
        .value_kind:     global_buffer
      - .actual_access:  read_only
        .address_space:  global
        .offset:         16
        .size:           8
        .value_kind:     global_buffer
      - .actual_access:  read_only
        .address_space:  global
        .offset:         24
        .size:           8
        .value_kind:     global_buffer
      - .actual_access:  read_only
        .address_space:  global
        .offset:         32
        .size:           8
        .value_kind:     global_buffer
      - .actual_access:  read_only
        .address_space:  global
        .offset:         40
        .size:           8
        .value_kind:     global_buffer
      - .actual_access:  read_only
        .address_space:  global
        .offset:         48
        .size:           8
        .value_kind:     global_buffer
      - .actual_access:  read_only
        .address_space:  global
        .offset:         56
        .size:           8
        .value_kind:     global_buffer
      - .actual_access:  read_only
        .address_space:  global
        .offset:         64
        .size:           8
        .value_kind:     global_buffer
      - .actual_access:  read_only
        .address_space:  global
        .offset:         72
        .size:           8
        .value_kind:     global_buffer
      - .actual_access:  write_only
        .address_space:  global
        .offset:         80
        .size:           8
        .value_kind:     global_buffer
      - .offset:         88
        .size:           4
        .value_kind:     by_value
      - .offset:         92
        .size:           4
        .value_kind:     by_value
      - .offset:         96
        .size:           4
        .value_kind:     by_value
      - .offset:         100
        .size:           4
        .value_kind:     by_value
      - .offset:         104
        .size:           1
        .value_kind:     by_value
      - .offset:         105
        .size:           1
        .value_kind:     by_value
    .group_segment_fixed_size: 0
    .kernarg_segment_align: 8
    .kernarg_segment_size: 108
    .language:       OpenCL C
    .language_version:
      - 2
      - 0
    .max_flat_workgroup_size: 256
    .name:           _ZN9rocsparseL35csrgemm_symbolic_fill_block_per_rowILj256ELj32ELj512ELj137ELj32EiiEEvT5_PKS1_S3_PKT4_S3_S6_S3_S6_S3_S6_PS1_21rocsparse_index_base_S8_S8_S8_bb
    .private_segment_fixed_size: 0
    .sgpr_count:     33
    .sgpr_spill_count: 0
    .symbol:         _ZN9rocsparseL35csrgemm_symbolic_fill_block_per_rowILj256ELj32ELj512ELj137ELj32EiiEEvT5_PKS1_S3_PKT4_S3_S6_S3_S6_S3_S6_PS1_21rocsparse_index_base_S8_S8_S8_bb.kd
    .uniform_work_group_size: 1
    .uses_dynamic_stack: false
    .vgpr_count:     20
    .vgpr_spill_count: 0
    .wavefront_size: 32
  - .args:
      - .offset:         0
        .size:           4
        .value_kind:     by_value
      - .actual_access:  read_only
        .address_space:  global
        .offset:         8
        .size:           8
        .value_kind:     global_buffer
      - .actual_access:  read_only
        .address_space:  global
        .offset:         16
        .size:           8
        .value_kind:     global_buffer
      - .actual_access:  read_only
        .address_space:  global
        .offset:         24
        .size:           8
        .value_kind:     global_buffer
      - .actual_access:  read_only
        .address_space:  global
        .offset:         32
        .size:           8
        .value_kind:     global_buffer
      - .actual_access:  read_only
        .address_space:  global
        .offset:         40
        .size:           8
        .value_kind:     global_buffer
      - .actual_access:  read_only
        .address_space:  global
        .offset:         48
        .size:           8
        .value_kind:     global_buffer
      - .actual_access:  read_only
        .address_space:  global
        .offset:         56
        .size:           8
        .value_kind:     global_buffer
      - .actual_access:  read_only
        .address_space:  global
        .offset:         64
        .size:           8
        .value_kind:     global_buffer
      - .actual_access:  read_only
        .address_space:  global
        .offset:         72
        .size:           8
        .value_kind:     global_buffer
      - .actual_access:  write_only
        .address_space:  global
        .offset:         80
        .size:           8
        .value_kind:     global_buffer
      - .offset:         88
        .size:           4
        .value_kind:     by_value
      - .offset:         92
        .size:           4
        .value_kind:     by_value
      - .offset:         96
        .size:           4
        .value_kind:     by_value
      - .offset:         100
        .size:           4
        .value_kind:     by_value
      - .offset:         104
        .size:           1
        .value_kind:     by_value
      - .offset:         105
        .size:           1
        .value_kind:     by_value
    .group_segment_fixed_size: 0
    .kernarg_segment_align: 8
    .kernarg_segment_size: 108
    .language:       OpenCL C
    .language_version:
      - 2
      - 0
    .max_flat_workgroup_size: 256
    .name:           _ZN9rocsparseL35csrgemm_symbolic_fill_block_per_rowILj256ELj32ELj512ELj137ELj64EiiEEvT5_PKS1_S3_PKT4_S3_S6_S3_S6_S3_S6_PS1_21rocsparse_index_base_S8_S8_S8_bb
    .private_segment_fixed_size: 0
    .sgpr_count:     33
    .sgpr_spill_count: 0
    .symbol:         _ZN9rocsparseL35csrgemm_symbolic_fill_block_per_rowILj256ELj32ELj512ELj137ELj64EiiEEvT5_PKS1_S3_PKT4_S3_S6_S3_S6_S3_S6_PS1_21rocsparse_index_base_S8_S8_S8_bb.kd
    .uniform_work_group_size: 1
    .uses_dynamic_stack: false
    .vgpr_count:     20
    .vgpr_spill_count: 0
    .wavefront_size: 32
  - .args:
      - .offset:         0
        .size:           4
        .value_kind:     by_value
      - .actual_access:  read_only
        .address_space:  global
        .offset:         8
        .size:           8
        .value_kind:     global_buffer
      - .actual_access:  read_only
        .address_space:  global
        .offset:         16
        .size:           8
        .value_kind:     global_buffer
      - .actual_access:  read_only
        .address_space:  global
        .offset:         24
        .size:           8
        .value_kind:     global_buffer
      - .actual_access:  read_only
        .address_space:  global
        .offset:         32
        .size:           8
        .value_kind:     global_buffer
      - .actual_access:  read_only
        .address_space:  global
        .offset:         40
        .size:           8
        .value_kind:     global_buffer
      - .actual_access:  read_only
        .address_space:  global
        .offset:         48
        .size:           8
        .value_kind:     global_buffer
      - .actual_access:  read_only
        .address_space:  global
        .offset:         56
        .size:           8
        .value_kind:     global_buffer
      - .actual_access:  read_only
        .address_space:  global
        .offset:         64
        .size:           8
        .value_kind:     global_buffer
      - .actual_access:  read_only
        .address_space:  global
        .offset:         72
        .size:           8
        .value_kind:     global_buffer
      - .actual_access:  write_only
        .address_space:  global
        .offset:         80
        .size:           8
        .value_kind:     global_buffer
      - .offset:         88
        .size:           4
        .value_kind:     by_value
      - .offset:         92
        .size:           4
        .value_kind:     by_value
      - .offset:         96
        .size:           4
        .value_kind:     by_value
      - .offset:         100
        .size:           4
        .value_kind:     by_value
      - .offset:         104
        .size:           1
        .value_kind:     by_value
      - .offset:         105
        .size:           1
        .value_kind:     by_value
    .group_segment_fixed_size: 0
    .kernarg_segment_align: 8
    .kernarg_segment_size: 108
    .language:       OpenCL C
    .language_version:
      - 2
      - 0
    .max_flat_workgroup_size: 512
    .name:           _ZN9rocsparseL35csrgemm_symbolic_fill_block_per_rowILj512ELj32ELj1024ELj137ELj32EiiEEvT5_PKS1_S3_PKT4_S3_S6_S3_S6_S3_S6_PS1_21rocsparse_index_base_S8_S8_S8_bb
    .private_segment_fixed_size: 0
    .sgpr_count:     33
    .sgpr_spill_count: 0
    .symbol:         _ZN9rocsparseL35csrgemm_symbolic_fill_block_per_rowILj512ELj32ELj1024ELj137ELj32EiiEEvT5_PKS1_S3_PKT4_S3_S6_S3_S6_S3_S6_PS1_21rocsparse_index_base_S8_S8_S8_bb.kd
    .uniform_work_group_size: 1
    .uses_dynamic_stack: false
    .vgpr_count:     20
    .vgpr_spill_count: 0
    .wavefront_size: 32
  - .args:
      - .offset:         0
        .size:           4
        .value_kind:     by_value
      - .actual_access:  read_only
        .address_space:  global
        .offset:         8
        .size:           8
        .value_kind:     global_buffer
      - .actual_access:  read_only
        .address_space:  global
        .offset:         16
        .size:           8
        .value_kind:     global_buffer
      - .actual_access:  read_only
        .address_space:  global
        .offset:         24
        .size:           8
        .value_kind:     global_buffer
      - .actual_access:  read_only
        .address_space:  global
        .offset:         32
        .size:           8
        .value_kind:     global_buffer
      - .actual_access:  read_only
        .address_space:  global
        .offset:         40
        .size:           8
        .value_kind:     global_buffer
      - .actual_access:  read_only
        .address_space:  global
        .offset:         48
        .size:           8
        .value_kind:     global_buffer
      - .actual_access:  read_only
        .address_space:  global
        .offset:         56
        .size:           8
        .value_kind:     global_buffer
      - .actual_access:  read_only
        .address_space:  global
        .offset:         64
        .size:           8
        .value_kind:     global_buffer
      - .actual_access:  read_only
        .address_space:  global
        .offset:         72
        .size:           8
        .value_kind:     global_buffer
      - .actual_access:  write_only
        .address_space:  global
        .offset:         80
        .size:           8
        .value_kind:     global_buffer
      - .offset:         88
        .size:           4
        .value_kind:     by_value
      - .offset:         92
        .size:           4
        .value_kind:     by_value
      - .offset:         96
        .size:           4
        .value_kind:     by_value
      - .offset:         100
        .size:           4
        .value_kind:     by_value
      - .offset:         104
        .size:           1
        .value_kind:     by_value
      - .offset:         105
        .size:           1
        .value_kind:     by_value
    .group_segment_fixed_size: 0
    .kernarg_segment_align: 8
    .kernarg_segment_size: 108
    .language:       OpenCL C
    .language_version:
      - 2
      - 0
    .max_flat_workgroup_size: 512
    .name:           _ZN9rocsparseL35csrgemm_symbolic_fill_block_per_rowILj512ELj32ELj1024ELj137ELj64EiiEEvT5_PKS1_S3_PKT4_S3_S6_S3_S6_S3_S6_PS1_21rocsparse_index_base_S8_S8_S8_bb
    .private_segment_fixed_size: 0
    .sgpr_count:     33
    .sgpr_spill_count: 0
    .symbol:         _ZN9rocsparseL35csrgemm_symbolic_fill_block_per_rowILj512ELj32ELj1024ELj137ELj64EiiEEvT5_PKS1_S3_PKT4_S3_S6_S3_S6_S3_S6_PS1_21rocsparse_index_base_S8_S8_S8_bb.kd
    .uniform_work_group_size: 1
    .uses_dynamic_stack: false
    .vgpr_count:     20
    .vgpr_spill_count: 0
    .wavefront_size: 32
  - .args:
      - .offset:         0
        .size:           4
        .value_kind:     by_value
      - .actual_access:  read_only
        .address_space:  global
        .offset:         8
        .size:           8
        .value_kind:     global_buffer
      - .actual_access:  read_only
        .address_space:  global
        .offset:         16
        .size:           8
        .value_kind:     global_buffer
      - .actual_access:  read_only
        .address_space:  global
        .offset:         24
        .size:           8
        .value_kind:     global_buffer
      - .actual_access:  read_only
        .address_space:  global
        .offset:         32
        .size:           8
        .value_kind:     global_buffer
      - .actual_access:  read_only
        .address_space:  global
        .offset:         40
        .size:           8
        .value_kind:     global_buffer
      - .actual_access:  read_only
        .address_space:  global
        .offset:         48
        .size:           8
        .value_kind:     global_buffer
      - .actual_access:  read_only
        .address_space:  global
        .offset:         56
        .size:           8
        .value_kind:     global_buffer
      - .actual_access:  read_only
        .address_space:  global
        .offset:         64
        .size:           8
        .value_kind:     global_buffer
      - .actual_access:  read_only
        .address_space:  global
        .offset:         72
        .size:           8
        .value_kind:     global_buffer
      - .actual_access:  write_only
        .address_space:  global
        .offset:         80
        .size:           8
        .value_kind:     global_buffer
      - .offset:         88
        .size:           4
        .value_kind:     by_value
      - .offset:         92
        .size:           4
        .value_kind:     by_value
      - .offset:         96
        .size:           4
        .value_kind:     by_value
      - .offset:         100
        .size:           4
        .value_kind:     by_value
      - .offset:         104
        .size:           1
        .value_kind:     by_value
      - .offset:         105
        .size:           1
        .value_kind:     by_value
    .group_segment_fixed_size: 0
    .kernarg_segment_align: 8
    .kernarg_segment_size: 108
    .language:       OpenCL C
    .language_version:
      - 2
      - 0
    .max_flat_workgroup_size: 1024
    .name:           _ZN9rocsparseL35csrgemm_symbolic_fill_block_per_rowILj1024ELj32ELj2048ELj137ELj32EiiEEvT5_PKS1_S3_PKT4_S3_S6_S3_S6_S3_S6_PS1_21rocsparse_index_base_S8_S8_S8_bb
    .private_segment_fixed_size: 0
    .sgpr_count:     44
    .sgpr_spill_count: 0
    .symbol:         _ZN9rocsparseL35csrgemm_symbolic_fill_block_per_rowILj1024ELj32ELj2048ELj137ELj32EiiEEvT5_PKS1_S3_PKT4_S3_S6_S3_S6_S3_S6_PS1_21rocsparse_index_base_S8_S8_S8_bb.kd
    .uniform_work_group_size: 1
    .uses_dynamic_stack: false
    .vgpr_count:     20
    .vgpr_spill_count: 0
    .wavefront_size: 32
  - .args:
      - .offset:         0
        .size:           4
        .value_kind:     by_value
      - .actual_access:  read_only
        .address_space:  global
        .offset:         8
        .size:           8
        .value_kind:     global_buffer
      - .actual_access:  read_only
        .address_space:  global
        .offset:         16
        .size:           8
        .value_kind:     global_buffer
      - .actual_access:  read_only
        .address_space:  global
        .offset:         24
        .size:           8
        .value_kind:     global_buffer
      - .actual_access:  read_only
        .address_space:  global
        .offset:         32
        .size:           8
        .value_kind:     global_buffer
      - .actual_access:  read_only
        .address_space:  global
        .offset:         40
        .size:           8
        .value_kind:     global_buffer
      - .actual_access:  read_only
        .address_space:  global
        .offset:         48
        .size:           8
        .value_kind:     global_buffer
      - .actual_access:  read_only
        .address_space:  global
        .offset:         56
        .size:           8
        .value_kind:     global_buffer
      - .actual_access:  read_only
        .address_space:  global
        .offset:         64
        .size:           8
        .value_kind:     global_buffer
      - .actual_access:  read_only
        .address_space:  global
        .offset:         72
        .size:           8
        .value_kind:     global_buffer
      - .actual_access:  write_only
        .address_space:  global
        .offset:         80
        .size:           8
        .value_kind:     global_buffer
      - .offset:         88
        .size:           4
        .value_kind:     by_value
      - .offset:         92
        .size:           4
        .value_kind:     by_value
      - .offset:         96
        .size:           4
        .value_kind:     by_value
      - .offset:         100
        .size:           4
        .value_kind:     by_value
      - .offset:         104
        .size:           1
        .value_kind:     by_value
      - .offset:         105
        .size:           1
        .value_kind:     by_value
    .group_segment_fixed_size: 0
    .kernarg_segment_align: 8
    .kernarg_segment_size: 108
    .language:       OpenCL C
    .language_version:
      - 2
      - 0
    .max_flat_workgroup_size: 1024
    .name:           _ZN9rocsparseL35csrgemm_symbolic_fill_block_per_rowILj1024ELj32ELj2048ELj137ELj64EiiEEvT5_PKS1_S3_PKT4_S3_S6_S3_S6_S3_S6_PS1_21rocsparse_index_base_S8_S8_S8_bb
    .private_segment_fixed_size: 0
    .sgpr_count:     27
    .sgpr_spill_count: 0
    .symbol:         _ZN9rocsparseL35csrgemm_symbolic_fill_block_per_rowILj1024ELj32ELj2048ELj137ELj64EiiEEvT5_PKS1_S3_PKT4_S3_S6_S3_S6_S3_S6_PS1_21rocsparse_index_base_S8_S8_S8_bb.kd
    .uniform_work_group_size: 1
    .uses_dynamic_stack: false
    .vgpr_count:     20
    .vgpr_spill_count: 0
    .wavefront_size: 32
  - .args:
      - .offset:         0
        .size:           4
        .value_kind:     by_value
      - .actual_access:  read_only
        .address_space:  global
        .offset:         8
        .size:           8
        .value_kind:     global_buffer
      - .actual_access:  read_only
        .address_space:  global
        .offset:         16
        .size:           8
        .value_kind:     global_buffer
      - .actual_access:  read_only
        .address_space:  global
        .offset:         24
        .size:           8
        .value_kind:     global_buffer
      - .actual_access:  read_only
        .address_space:  global
        .offset:         32
        .size:           8
        .value_kind:     global_buffer
      - .actual_access:  read_only
        .address_space:  global
        .offset:         40
        .size:           8
        .value_kind:     global_buffer
      - .actual_access:  read_only
        .address_space:  global
        .offset:         48
        .size:           8
        .value_kind:     global_buffer
      - .actual_access:  read_only
        .address_space:  global
        .offset:         56
        .size:           8
        .value_kind:     global_buffer
      - .actual_access:  read_only
        .address_space:  global
        .offset:         64
        .size:           8
        .value_kind:     global_buffer
      - .actual_access:  read_only
        .address_space:  global
        .offset:         72
        .size:           8
        .value_kind:     global_buffer
      - .actual_access:  write_only
        .address_space:  global
        .offset:         80
        .size:           8
        .value_kind:     global_buffer
      - .offset:         88
        .size:           4
        .value_kind:     by_value
      - .offset:         92
        .size:           4
        .value_kind:     by_value
      - .offset:         96
        .size:           4
        .value_kind:     by_value
      - .offset:         100
        .size:           4
        .value_kind:     by_value
      - .offset:         104
        .size:           1
        .value_kind:     by_value
      - .offset:         105
        .size:           1
        .value_kind:     by_value
    .group_segment_fixed_size: 0
    .kernarg_segment_align: 8
    .kernarg_segment_size: 108
    .language:       OpenCL C
    .language_version:
      - 2
      - 0
    .max_flat_workgroup_size: 1024
    .name:           _ZN9rocsparseL35csrgemm_symbolic_fill_block_per_rowILj1024ELj64ELj4096ELj137ELj32EiiEEvT5_PKS1_S3_PKT4_S3_S6_S3_S6_S3_S6_PS1_21rocsparse_index_base_S8_S8_S8_bb
    .private_segment_fixed_size: 0
    .sgpr_count:     44
    .sgpr_spill_count: 0
    .symbol:         _ZN9rocsparseL35csrgemm_symbolic_fill_block_per_rowILj1024ELj64ELj4096ELj137ELj32EiiEEvT5_PKS1_S3_PKT4_S3_S6_S3_S6_S3_S6_PS1_21rocsparse_index_base_S8_S8_S8_bb.kd
    .uniform_work_group_size: 1
    .uses_dynamic_stack: false
    .vgpr_count:     20
    .vgpr_spill_count: 0
    .wavefront_size: 32
  - .args:
      - .offset:         0
        .size:           4
        .value_kind:     by_value
      - .actual_access:  read_only
        .address_space:  global
        .offset:         8
        .size:           8
        .value_kind:     global_buffer
      - .actual_access:  read_only
        .address_space:  global
        .offset:         16
        .size:           8
        .value_kind:     global_buffer
      - .actual_access:  read_only
        .address_space:  global
        .offset:         24
        .size:           8
        .value_kind:     global_buffer
      - .actual_access:  read_only
        .address_space:  global
        .offset:         32
        .size:           8
        .value_kind:     global_buffer
      - .actual_access:  read_only
        .address_space:  global
        .offset:         40
        .size:           8
        .value_kind:     global_buffer
      - .actual_access:  read_only
        .address_space:  global
        .offset:         48
        .size:           8
        .value_kind:     global_buffer
      - .actual_access:  read_only
        .address_space:  global
        .offset:         56
        .size:           8
        .value_kind:     global_buffer
      - .actual_access:  read_only
        .address_space:  global
        .offset:         64
        .size:           8
        .value_kind:     global_buffer
      - .actual_access:  read_only
        .address_space:  global
        .offset:         72
        .size:           8
        .value_kind:     global_buffer
      - .actual_access:  write_only
        .address_space:  global
        .offset:         80
        .size:           8
        .value_kind:     global_buffer
      - .offset:         88
        .size:           4
        .value_kind:     by_value
      - .offset:         92
        .size:           4
        .value_kind:     by_value
      - .offset:         96
        .size:           4
        .value_kind:     by_value
      - .offset:         100
        .size:           4
        .value_kind:     by_value
      - .offset:         104
        .size:           1
        .value_kind:     by_value
      - .offset:         105
        .size:           1
        .value_kind:     by_value
    .group_segment_fixed_size: 0
    .kernarg_segment_align: 8
    .kernarg_segment_size: 108
    .language:       OpenCL C
    .language_version:
      - 2
      - 0
    .max_flat_workgroup_size: 1024
    .name:           _ZN9rocsparseL35csrgemm_symbolic_fill_block_per_rowILj1024ELj64ELj4096ELj137ELj64EiiEEvT5_PKS1_S3_PKT4_S3_S6_S3_S6_S3_S6_PS1_21rocsparse_index_base_S8_S8_S8_bb
    .private_segment_fixed_size: 0
    .sgpr_count:     27
    .sgpr_spill_count: 0
    .symbol:         _ZN9rocsparseL35csrgemm_symbolic_fill_block_per_rowILj1024ELj64ELj4096ELj137ELj64EiiEEvT5_PKS1_S3_PKT4_S3_S6_S3_S6_S3_S6_PS1_21rocsparse_index_base_S8_S8_S8_bb.kd
    .uniform_work_group_size: 1
    .uses_dynamic_stack: false
    .vgpr_count:     20
    .vgpr_spill_count: 0
    .wavefront_size: 32
  - .args:
      - .offset:         0
        .size:           4
        .value_kind:     by_value
      - .actual_access:  read_only
        .address_space:  global
        .offset:         8
        .size:           8
        .value_kind:     global_buffer
      - .actual_access:  read_only
        .address_space:  global
        .offset:         16
        .size:           8
        .value_kind:     global_buffer
      - .actual_access:  read_only
        .address_space:  global
        .offset:         24
        .size:           8
        .value_kind:     global_buffer
      - .actual_access:  read_only
        .address_space:  global
        .offset:         32
        .size:           8
        .value_kind:     global_buffer
      - .actual_access:  read_only
        .address_space:  global
        .offset:         40
        .size:           8
        .value_kind:     global_buffer
      - .actual_access:  read_only
        .address_space:  global
        .offset:         48
        .size:           8
        .value_kind:     global_buffer
      - .actual_access:  read_only
        .address_space:  global
        .offset:         56
        .size:           8
        .value_kind:     global_buffer
      - .actual_access:  read_only
        .address_space:  global
        .offset:         64
        .size:           8
        .value_kind:     global_buffer
      - .actual_access:  read_only
        .address_space:  global
        .offset:         72
        .size:           8
        .value_kind:     global_buffer
      - .actual_access:  write_only
        .address_space:  global
        .offset:         80
        .size:           8
        .value_kind:     global_buffer
      - .offset:         88
        .size:           4
        .value_kind:     by_value
      - .offset:         92
        .size:           4
        .value_kind:     by_value
      - .offset:         96
        .size:           4
        .value_kind:     by_value
      - .offset:         100
        .size:           4
        .value_kind:     by_value
      - .offset:         104
        .size:           1
        .value_kind:     by_value
      - .offset:         105
        .size:           1
        .value_kind:     by_value
    .group_segment_fixed_size: 0
    .kernarg_segment_align: 8
    .kernarg_segment_size: 108
    .language:       OpenCL C
    .language_version:
      - 2
      - 0
    .max_flat_workgroup_size: 1024
    .name:           _ZN9rocsparseL35csrgemm_symbolic_fill_block_per_rowILj1024ELj64ELj8192ELj137ELj32EiiEEvT5_PKS1_S3_PKT4_S3_S6_S3_S6_S3_S6_PS1_21rocsparse_index_base_S8_S8_S8_bb
    .private_segment_fixed_size: 0
    .sgpr_count:     44
    .sgpr_spill_count: 0
    .symbol:         _ZN9rocsparseL35csrgemm_symbolic_fill_block_per_rowILj1024ELj64ELj8192ELj137ELj32EiiEEvT5_PKS1_S3_PKT4_S3_S6_S3_S6_S3_S6_PS1_21rocsparse_index_base_S8_S8_S8_bb.kd
    .uniform_work_group_size: 1
    .uses_dynamic_stack: false
    .vgpr_count:     20
    .vgpr_spill_count: 0
    .wavefront_size: 32
  - .args:
      - .offset:         0
        .size:           4
        .value_kind:     by_value
      - .actual_access:  read_only
        .address_space:  global
        .offset:         8
        .size:           8
        .value_kind:     global_buffer
      - .actual_access:  read_only
        .address_space:  global
        .offset:         16
        .size:           8
        .value_kind:     global_buffer
      - .actual_access:  read_only
        .address_space:  global
        .offset:         24
        .size:           8
        .value_kind:     global_buffer
      - .actual_access:  read_only
        .address_space:  global
        .offset:         32
        .size:           8
        .value_kind:     global_buffer
      - .actual_access:  read_only
        .address_space:  global
        .offset:         40
        .size:           8
        .value_kind:     global_buffer
      - .actual_access:  read_only
        .address_space:  global
        .offset:         48
        .size:           8
        .value_kind:     global_buffer
      - .actual_access:  read_only
        .address_space:  global
        .offset:         56
        .size:           8
        .value_kind:     global_buffer
      - .actual_access:  read_only
        .address_space:  global
        .offset:         64
        .size:           8
        .value_kind:     global_buffer
      - .actual_access:  read_only
        .address_space:  global
        .offset:         72
        .size:           8
        .value_kind:     global_buffer
      - .actual_access:  write_only
        .address_space:  global
        .offset:         80
        .size:           8
        .value_kind:     global_buffer
      - .offset:         88
        .size:           4
        .value_kind:     by_value
      - .offset:         92
        .size:           4
        .value_kind:     by_value
      - .offset:         96
        .size:           4
        .value_kind:     by_value
      - .offset:         100
        .size:           4
        .value_kind:     by_value
      - .offset:         104
        .size:           1
        .value_kind:     by_value
      - .offset:         105
        .size:           1
        .value_kind:     by_value
    .group_segment_fixed_size: 0
    .kernarg_segment_align: 8
    .kernarg_segment_size: 108
    .language:       OpenCL C
    .language_version:
      - 2
      - 0
    .max_flat_workgroup_size: 1024
    .name:           _ZN9rocsparseL35csrgemm_symbolic_fill_block_per_rowILj1024ELj64ELj8192ELj137ELj64EiiEEvT5_PKS1_S3_PKT4_S3_S6_S3_S6_S3_S6_PS1_21rocsparse_index_base_S8_S8_S8_bb
    .private_segment_fixed_size: 0
    .sgpr_count:     27
    .sgpr_spill_count: 0
    .symbol:         _ZN9rocsparseL35csrgemm_symbolic_fill_block_per_rowILj1024ELj64ELj8192ELj137ELj64EiiEEvT5_PKS1_S3_PKT4_S3_S6_S3_S6_S3_S6_PS1_21rocsparse_index_base_S8_S8_S8_bb.kd
    .uniform_work_group_size: 1
    .uses_dynamic_stack: false
    .vgpr_count:     20
    .vgpr_spill_count: 0
    .wavefront_size: 32
  - .args:
      - .offset:         0
        .size:           4
        .value_kind:     by_value
      - .actual_access:  read_only
        .address_space:  global
        .offset:         8
        .size:           8
        .value_kind:     global_buffer
      - .actual_access:  read_only
        .address_space:  global
        .offset:         16
        .size:           8
        .value_kind:     global_buffer
      - .actual_access:  read_only
        .address_space:  global
        .offset:         24
        .size:           8
        .value_kind:     global_buffer
      - .actual_access:  read_only
        .address_space:  global
        .offset:         32
        .size:           8
        .value_kind:     global_buffer
      - .actual_access:  read_only
        .address_space:  global
        .offset:         40
        .size:           8
        .value_kind:     global_buffer
      - .actual_access:  read_only
        .address_space:  global
        .offset:         48
        .size:           8
        .value_kind:     global_buffer
      - .actual_access:  read_only
        .address_space:  global
        .offset:         56
        .size:           8
        .value_kind:     global_buffer
      - .actual_access:  read_only
        .address_space:  global
        .offset:         64
        .size:           8
        .value_kind:     global_buffer
      - .actual_access:  read_only
        .address_space:  global
        .offset:         72
        .size:           8
        .value_kind:     global_buffer
      - .actual_access:  write_only
        .address_space:  global
        .offset:         80
        .size:           8
        .value_kind:     global_buffer
      - .offset:         88
        .size:           4
        .value_kind:     by_value
      - .offset:         92
        .size:           4
        .value_kind:     by_value
      - .offset:         96
        .size:           4
        .value_kind:     by_value
      - .offset:         100
        .size:           4
        .value_kind:     by_value
      - .offset:         104
        .size:           1
        .value_kind:     by_value
      - .offset:         105
        .size:           1
        .value_kind:     by_value
    .group_segment_fixed_size: 0
    .kernarg_segment_align: 8
    .kernarg_segment_size: 108
    .language:       OpenCL C
    .language_version:
      - 2
      - 0
    .max_flat_workgroup_size: 1024
    .name:           _ZN9rocsparseL35csrgemm_symbolic_fill_block_per_rowILj1024ELj64ELj16384ELj137ELj32EiiEEvT5_PKS1_S3_PKT4_S3_S6_S3_S6_S3_S6_PS1_21rocsparse_index_base_S8_S8_S8_bb
    .private_segment_fixed_size: 0
    .sgpr_count:     76
    .sgpr_spill_count: 0
    .symbol:         _ZN9rocsparseL35csrgemm_symbolic_fill_block_per_rowILj1024ELj64ELj16384ELj137ELj32EiiEEvT5_PKS1_S3_PKT4_S3_S6_S3_S6_S3_S6_PS1_21rocsparse_index_base_S8_S8_S8_bb.kd
    .uniform_work_group_size: 1
    .uses_dynamic_stack: false
    .vgpr_count:     20
    .vgpr_spill_count: 0
    .wavefront_size: 32
  - .args:
      - .offset:         0
        .size:           4
        .value_kind:     by_value
      - .actual_access:  read_only
        .address_space:  global
        .offset:         8
        .size:           8
        .value_kind:     global_buffer
      - .actual_access:  read_only
        .address_space:  global
        .offset:         16
        .size:           8
        .value_kind:     global_buffer
      - .actual_access:  read_only
        .address_space:  global
        .offset:         24
        .size:           8
        .value_kind:     global_buffer
      - .actual_access:  read_only
        .address_space:  global
        .offset:         32
        .size:           8
        .value_kind:     global_buffer
      - .actual_access:  read_only
        .address_space:  global
        .offset:         40
        .size:           8
        .value_kind:     global_buffer
      - .actual_access:  read_only
        .address_space:  global
        .offset:         48
        .size:           8
        .value_kind:     global_buffer
      - .actual_access:  read_only
        .address_space:  global
        .offset:         56
        .size:           8
        .value_kind:     global_buffer
      - .actual_access:  read_only
        .address_space:  global
        .offset:         64
        .size:           8
        .value_kind:     global_buffer
      - .actual_access:  read_only
        .address_space:  global
        .offset:         72
        .size:           8
        .value_kind:     global_buffer
      - .actual_access:  write_only
        .address_space:  global
        .offset:         80
        .size:           8
        .value_kind:     global_buffer
      - .offset:         88
        .size:           4
        .value_kind:     by_value
      - .offset:         92
        .size:           4
        .value_kind:     by_value
      - .offset:         96
        .size:           4
        .value_kind:     by_value
      - .offset:         100
        .size:           4
        .value_kind:     by_value
      - .offset:         104
        .size:           1
        .value_kind:     by_value
      - .offset:         105
        .size:           1
        .value_kind:     by_value
    .group_segment_fixed_size: 0
    .kernarg_segment_align: 8
    .kernarg_segment_size: 108
    .language:       OpenCL C
    .language_version:
      - 2
      - 0
    .max_flat_workgroup_size: 1024
    .name:           _ZN9rocsparseL35csrgemm_symbolic_fill_block_per_rowILj1024ELj64ELj16384ELj137ELj64EiiEEvT5_PKS1_S3_PKT4_S3_S6_S3_S6_S3_S6_PS1_21rocsparse_index_base_S8_S8_S8_bb
    .private_segment_fixed_size: 0
    .sgpr_count:     44
    .sgpr_spill_count: 0
    .symbol:         _ZN9rocsparseL35csrgemm_symbolic_fill_block_per_rowILj1024ELj64ELj16384ELj137ELj64EiiEEvT5_PKS1_S3_PKT4_S3_S6_S3_S6_S3_S6_PS1_21rocsparse_index_base_S8_S8_S8_bb.kd
    .uniform_work_group_size: 1
    .uses_dynamic_stack: false
    .vgpr_count:     20
    .vgpr_spill_count: 0
    .wavefront_size: 32
  - .args:
      - .offset:         0
        .size:           4
        .value_kind:     by_value
      - .actual_access:  read_only
        .address_space:  global
        .offset:         8
        .size:           8
        .value_kind:     global_buffer
      - .actual_access:  read_only
        .address_space:  global
        .offset:         16
        .size:           8
        .value_kind:     global_buffer
      - .actual_access:  read_only
        .address_space:  global
        .offset:         24
        .size:           8
        .value_kind:     global_buffer
      - .actual_access:  read_only
        .address_space:  global
        .offset:         32
        .size:           8
        .value_kind:     global_buffer
      - .actual_access:  read_only
        .address_space:  global
        .offset:         40
        .size:           8
        .value_kind:     global_buffer
      - .actual_access:  read_only
        .address_space:  global
        .offset:         48
        .size:           8
        .value_kind:     global_buffer
      - .actual_access:  read_only
        .address_space:  global
        .offset:         56
        .size:           8
        .value_kind:     global_buffer
      - .actual_access:  read_only
        .address_space:  global
        .offset:         64
        .size:           8
        .value_kind:     global_buffer
      - .actual_access:  read_only
        .address_space:  global
        .offset:         72
        .size:           8
        .value_kind:     global_buffer
      - .actual_access:  write_only
        .address_space:  global
        .offset:         80
        .size:           8
        .value_kind:     global_buffer
      - .offset:         88
        .size:           4
        .value_kind:     by_value
      - .offset:         92
        .size:           4
        .value_kind:     by_value
      - .offset:         96
        .size:           4
        .value_kind:     by_value
      - .offset:         100
        .size:           4
        .value_kind:     by_value
      - .offset:         104
        .size:           1
        .value_kind:     by_value
      - .offset:         105
        .size:           1
        .value_kind:     by_value
    .group_segment_fixed_size: 0
    .kernarg_segment_align: 8
    .kernarg_segment_size: 108
    .language:       OpenCL C
    .language_version:
      - 2
      - 0
    .max_flat_workgroup_size: 1024
    .name:           _ZN9rocsparseL35csrgemm_symbolic_fill_block_per_rowILj1024ELj64ELj32768ELj137ELj32EiiEEvT5_PKS1_S3_PKT4_S3_S6_S3_S6_S3_S6_PS1_21rocsparse_index_base_S8_S8_S8_bb
    .private_segment_fixed_size: 0
    .sgpr_count:     76
    .sgpr_spill_count: 0
    .symbol:         _ZN9rocsparseL35csrgemm_symbolic_fill_block_per_rowILj1024ELj64ELj32768ELj137ELj32EiiEEvT5_PKS1_S3_PKT4_S3_S6_S3_S6_S3_S6_PS1_21rocsparse_index_base_S8_S8_S8_bb.kd
    .uniform_work_group_size: 1
    .uses_dynamic_stack: false
    .vgpr_count:     20
    .vgpr_spill_count: 0
    .wavefront_size: 32
  - .args:
      - .offset:         0
        .size:           4
        .value_kind:     by_value
      - .actual_access:  read_only
        .address_space:  global
        .offset:         8
        .size:           8
        .value_kind:     global_buffer
      - .actual_access:  read_only
        .address_space:  global
        .offset:         16
        .size:           8
        .value_kind:     global_buffer
      - .actual_access:  read_only
        .address_space:  global
        .offset:         24
        .size:           8
        .value_kind:     global_buffer
      - .actual_access:  read_only
        .address_space:  global
        .offset:         32
        .size:           8
        .value_kind:     global_buffer
      - .actual_access:  read_only
        .address_space:  global
        .offset:         40
        .size:           8
        .value_kind:     global_buffer
      - .actual_access:  read_only
        .address_space:  global
        .offset:         48
        .size:           8
        .value_kind:     global_buffer
      - .actual_access:  read_only
        .address_space:  global
        .offset:         56
        .size:           8
        .value_kind:     global_buffer
      - .actual_access:  read_only
        .address_space:  global
        .offset:         64
        .size:           8
        .value_kind:     global_buffer
      - .actual_access:  read_only
        .address_space:  global
        .offset:         72
        .size:           8
        .value_kind:     global_buffer
      - .actual_access:  write_only
        .address_space:  global
        .offset:         80
        .size:           8
        .value_kind:     global_buffer
      - .offset:         88
        .size:           4
        .value_kind:     by_value
      - .offset:         92
        .size:           4
        .value_kind:     by_value
      - .offset:         96
        .size:           4
        .value_kind:     by_value
      - .offset:         100
        .size:           4
        .value_kind:     by_value
      - .offset:         104
        .size:           1
        .value_kind:     by_value
      - .offset:         105
        .size:           1
        .value_kind:     by_value
    .group_segment_fixed_size: 0
    .kernarg_segment_align: 8
    .kernarg_segment_size: 108
    .language:       OpenCL C
    .language_version:
      - 2
      - 0
    .max_flat_workgroup_size: 1024
    .name:           _ZN9rocsparseL35csrgemm_symbolic_fill_block_per_rowILj1024ELj64ELj32768ELj137ELj64EiiEEvT5_PKS1_S3_PKT4_S3_S6_S3_S6_S3_S6_PS1_21rocsparse_index_base_S8_S8_S8_bb
    .private_segment_fixed_size: 0
    .sgpr_count:     44
    .sgpr_spill_count: 0
    .symbol:         _ZN9rocsparseL35csrgemm_symbolic_fill_block_per_rowILj1024ELj64ELj32768ELj137ELj64EiiEEvT5_PKS1_S3_PKT4_S3_S6_S3_S6_S3_S6_PS1_21rocsparse_index_base_S8_S8_S8_bb.kd
    .uniform_work_group_size: 1
    .uses_dynamic_stack: false
    .vgpr_count:     20
    .vgpr_spill_count: 0
    .wavefront_size: 32
  - .args:
      - .offset:         0
        .size:           4
        .value_kind:     by_value
      - .actual_access:  read_only
        .address_space:  global
        .offset:         8
        .size:           8
        .value_kind:     global_buffer
      - .actual_access:  read_only
        .address_space:  global
        .offset:         16
        .size:           8
        .value_kind:     global_buffer
      - .actual_access:  read_only
        .address_space:  global
        .offset:         24
        .size:           8
        .value_kind:     global_buffer
      - .actual_access:  read_only
        .address_space:  global
        .offset:         32
        .size:           8
        .value_kind:     global_buffer
      - .actual_access:  read_only
        .address_space:  global
        .offset:         40
        .size:           8
        .value_kind:     global_buffer
      - .actual_access:  read_only
        .address_space:  global
        .offset:         48
        .size:           8
        .value_kind:     global_buffer
      - .actual_access:  read_only
        .address_space:  global
        .offset:         56
        .size:           8
        .value_kind:     global_buffer
      - .actual_access:  read_only
        .address_space:  global
        .offset:         64
        .size:           8
        .value_kind:     global_buffer
      - .actual_access:  read_only
        .address_space:  global
        .offset:         72
        .size:           8
        .value_kind:     global_buffer
      - .actual_access:  write_only
        .address_space:  global
        .offset:         80
        .size:           8
        .value_kind:     global_buffer
      - .address_space:  global
        .offset:         88
        .size:           8
        .value_kind:     global_buffer
      - .offset:         96
        .size:           4
        .value_kind:     by_value
      - .offset:         100
        .size:           4
        .value_kind:     by_value
      - .offset:         104
        .size:           4
        .value_kind:     by_value
      - .offset:         108
        .size:           4
        .value_kind:     by_value
      - .offset:         112
        .size:           1
        .value_kind:     by_value
      - .offset:         113
        .size:           1
        .value_kind:     by_value
    .group_segment_fixed_size: 10244
    .kernarg_segment_align: 8
    .kernarg_segment_size: 116
    .language:       OpenCL C
    .language_version:
      - 2
      - 0
    .max_flat_workgroup_size: 512
    .name:           _ZN9rocsparseL45csrgemm_symbolic_fill_block_per_row_multipassILj512ELj16ELj2048ELj32EiiEEvT4_PKS1_S3_PKT3_S3_S6_S3_S6_S3_S6_PS1_PS4_21rocsparse_index_base_S9_S9_S9_bb
    .private_segment_fixed_size: 0
    .sgpr_count:     54
    .sgpr_spill_count: 0
    .symbol:         _ZN9rocsparseL45csrgemm_symbolic_fill_block_per_row_multipassILj512ELj16ELj2048ELj32EiiEEvT4_PKS1_S3_PKT3_S3_S6_S3_S6_S3_S6_PS1_PS4_21rocsparse_index_base_S9_S9_S9_bb.kd
    .uniform_work_group_size: 1
    .uses_dynamic_stack: false
    .vgpr_count:     31
    .vgpr_spill_count: 0
    .wavefront_size: 32
  - .args:
      - .offset:         0
        .size:           4
        .value_kind:     by_value
      - .actual_access:  read_only
        .address_space:  global
        .offset:         8
        .size:           8
        .value_kind:     global_buffer
      - .actual_access:  read_only
        .address_space:  global
        .offset:         16
        .size:           8
        .value_kind:     global_buffer
      - .actual_access:  read_only
        .address_space:  global
        .offset:         24
        .size:           8
        .value_kind:     global_buffer
      - .actual_access:  read_only
        .address_space:  global
        .offset:         32
        .size:           8
        .value_kind:     global_buffer
      - .actual_access:  read_only
        .address_space:  global
        .offset:         40
        .size:           8
        .value_kind:     global_buffer
      - .actual_access:  read_only
        .address_space:  global
        .offset:         48
        .size:           8
        .value_kind:     global_buffer
      - .actual_access:  read_only
        .address_space:  global
        .offset:         56
        .size:           8
        .value_kind:     global_buffer
      - .actual_access:  read_only
        .address_space:  global
        .offset:         64
        .size:           8
        .value_kind:     global_buffer
      - .actual_access:  read_only
        .address_space:  global
        .offset:         72
        .size:           8
        .value_kind:     global_buffer
      - .actual_access:  write_only
        .address_space:  global
        .offset:         80
        .size:           8
        .value_kind:     global_buffer
      - .address_space:  global
        .offset:         88
        .size:           8
        .value_kind:     global_buffer
      - .offset:         96
        .size:           4
        .value_kind:     by_value
      - .offset:         100
        .size:           4
        .value_kind:     by_value
      - .offset:         104
        .size:           4
        .value_kind:     by_value
      - .offset:         108
        .size:           4
        .value_kind:     by_value
      - .offset:         112
        .size:           1
        .value_kind:     by_value
      - .offset:         113
        .size:           1
        .value_kind:     by_value
    .group_segment_fixed_size: 10244
    .kernarg_segment_align: 8
    .kernarg_segment_size: 116
    .language:       OpenCL C
    .language_version:
      - 2
      - 0
    .max_flat_workgroup_size: 512
    .name:           _ZN9rocsparseL45csrgemm_symbolic_fill_block_per_row_multipassILj512ELj16ELj2048ELj64EiiEEvT4_PKS1_S3_PKT3_S3_S6_S3_S6_S3_S6_PS1_PS4_21rocsparse_index_base_S9_S9_S9_bb
    .private_segment_fixed_size: 0
    .sgpr_count:     46
    .sgpr_spill_count: 0
    .symbol:         _ZN9rocsparseL45csrgemm_symbolic_fill_block_per_row_multipassILj512ELj16ELj2048ELj64EiiEEvT4_PKS1_S3_PKT3_S3_S6_S3_S6_S3_S6_PS1_PS4_21rocsparse_index_base_S9_S9_S9_bb.kd
    .uniform_work_group_size: 1
    .uses_dynamic_stack: false
    .vgpr_count:     24
    .vgpr_spill_count: 0
    .wavefront_size: 32
  - .args:
      - .offset:         0
        .size:           4
        .value_kind:     by_value
      - .actual_access:  read_only
        .address_space:  global
        .offset:         8
        .size:           8
        .value_kind:     global_buffer
      - .actual_access:  write_only
        .address_space:  global
        .offset:         16
        .size:           8
        .value_kind:     global_buffer
      - .offset:         24
        .size:           4
        .value_kind:     hidden_block_count_x
      - .offset:         28
        .size:           4
        .value_kind:     hidden_block_count_y
      - .offset:         32
        .size:           4
        .value_kind:     hidden_block_count_z
      - .offset:         36
        .size:           2
        .value_kind:     hidden_group_size_x
      - .offset:         38
        .size:           2
        .value_kind:     hidden_group_size_y
      - .offset:         40
        .size:           2
        .value_kind:     hidden_group_size_z
      - .offset:         42
        .size:           2
        .value_kind:     hidden_remainder_x
      - .offset:         44
        .size:           2
        .value_kind:     hidden_remainder_y
      - .offset:         46
        .size:           2
        .value_kind:     hidden_remainder_z
      - .offset:         64
        .size:           8
        .value_kind:     hidden_global_offset_x
      - .offset:         72
        .size:           8
        .value_kind:     hidden_global_offset_y
      - .offset:         80
        .size:           8
        .value_kind:     hidden_global_offset_z
      - .offset:         88
        .size:           2
        .value_kind:     hidden_grid_dims
    .group_segment_fixed_size: 1024
    .kernarg_segment_align: 8
    .kernarg_segment_size: 280
    .language:       OpenCL C
    .language_version:
      - 2
      - 0
    .max_flat_workgroup_size: 256
    .name:           _ZN9rocsparseL34csrgemm_symbolic_max_row_nnz_part1ILj256EliEEvT1_PKT0_PS1_
    .private_segment_fixed_size: 0
    .sgpr_count:     13
    .sgpr_spill_count: 0
    .symbol:         _ZN9rocsparseL34csrgemm_symbolic_max_row_nnz_part1ILj256EliEEvT1_PKT0_PS1_.kd
    .uniform_work_group_size: 1
    .uses_dynamic_stack: false
    .vgpr_count:     10
    .vgpr_spill_count: 0
    .wavefront_size: 32
  - .args:
      - .offset:         0
        .size:           4
        .value_kind:     by_value
      - .actual_access:  read_only
        .address_space:  global
        .offset:         8
        .size:           8
        .value_kind:     global_buffer
      - .actual_access:  write_only
        .address_space:  global
        .offset:         16
        .size:           8
        .value_kind:     global_buffer
      - .actual_access:  write_only
        .address_space:  global
        .offset:         24
        .size:           8
        .value_kind:     global_buffer
      - .offset:         32
        .size:           4
        .value_kind:     by_value
      - .offset:         40
        .size:           4
        .value_kind:     hidden_block_count_x
      - .offset:         44
        .size:           4
        .value_kind:     hidden_block_count_y
      - .offset:         48
        .size:           4
        .value_kind:     hidden_block_count_z
      - .offset:         52
        .size:           2
        .value_kind:     hidden_group_size_x
      - .offset:         54
        .size:           2
        .value_kind:     hidden_group_size_y
      - .offset:         56
        .size:           2
        .value_kind:     hidden_group_size_z
      - .offset:         58
        .size:           2
        .value_kind:     hidden_remainder_x
      - .offset:         60
        .size:           2
        .value_kind:     hidden_remainder_y
      - .offset:         62
        .size:           2
        .value_kind:     hidden_remainder_z
      - .offset:         80
        .size:           8
        .value_kind:     hidden_global_offset_x
      - .offset:         88
        .size:           8
        .value_kind:     hidden_global_offset_y
      - .offset:         96
        .size:           8
        .value_kind:     hidden_global_offset_z
      - .offset:         104
        .size:           2
        .value_kind:     hidden_grid_dims
    .group_segment_fixed_size: 11264
    .kernarg_segment_align: 8
    .kernarg_segment_size: 296
    .language:       OpenCL C
    .language_version:
      - 2
      - 0
    .max_flat_workgroup_size: 256
    .name:           _ZN9rocsparseL35csrgemm_symbolic_group_reduce_part2ILj256ELj11EliEEvT2_PKT1_PS1_Pij
    .private_segment_fixed_size: 0
    .sgpr_count:     28
    .sgpr_spill_count: 0
    .symbol:         _ZN9rocsparseL35csrgemm_symbolic_group_reduce_part2ILj256ELj11EliEEvT2_PKT1_PS1_Pij.kd
    .uniform_work_group_size: 1
    .uses_dynamic_stack: false
    .vgpr_count:     24
    .vgpr_spill_count: 0
    .wavefront_size: 32
  - .args:
      - .offset:         0
        .size:           4
        .value_kind:     by_value
      - .offset:         4
        .size:           4
        .value_kind:     by_value
      - .actual_access:  read_only
        .address_space:  global
        .offset:         8
        .size:           8
        .value_kind:     global_buffer
      - .actual_access:  read_only
        .address_space:  global
        .offset:         16
        .size:           8
        .value_kind:     global_buffer
      - .actual_access:  read_only
        .address_space:  global
        .offset:         24
        .size:           8
        .value_kind:     global_buffer
      - .actual_access:  read_only
        .address_space:  global
        .offset:         32
        .size:           8
        .value_kind:     global_buffer
      - .actual_access:  read_only
        .address_space:  global
        .offset:         40
        .size:           8
        .value_kind:     global_buffer
      - .actual_access:  read_only
        .address_space:  global
        .offset:         48
        .size:           8
        .value_kind:     global_buffer
      - .actual_access:  read_only
        .address_space:  global
        .offset:         56
        .size:           8
        .value_kind:     global_buffer
      - .actual_access:  read_only
        .address_space:  global
        .offset:         64
        .size:           8
        .value_kind:     global_buffer
      - .actual_access:  read_only
        .address_space:  global
        .offset:         72
        .size:           8
        .value_kind:     global_buffer
      - .actual_access:  write_only
        .address_space:  global
        .offset:         80
        .size:           8
        .value_kind:     global_buffer
      - .offset:         88
        .size:           4
        .value_kind:     by_value
      - .offset:         92
        .size:           4
        .value_kind:     by_value
      - .offset:         96
        .size:           4
        .value_kind:     by_value
      - .offset:         100
        .size:           4
        .value_kind:     by_value
      - .offset:         104
        .size:           1
        .value_kind:     by_value
      - .offset:         105
        .size:           1
        .value_kind:     by_value
    .group_segment_fixed_size: 2048
    .kernarg_segment_align: 8
    .kernarg_segment_size: 108
    .language:       OpenCL C
    .language_version:
      - 2
      - 0
    .max_flat_workgroup_size: 256
    .name:           _ZN9rocsparseL32csrgemm_symbolic_fill_wf_per_rowILj256ELj8ELj16ELj137EliEEvT4_S1_PKS1_S3_PKT3_S3_S6_S3_S6_S3_S6_PS1_21rocsparse_index_base_S8_S8_S8_bb
    .private_segment_fixed_size: 0
    .sgpr_count:     27
    .sgpr_spill_count: 0
    .symbol:         _ZN9rocsparseL32csrgemm_symbolic_fill_wf_per_rowILj256ELj8ELj16ELj137EliEEvT4_S1_PKS1_S3_PKT3_S3_S6_S3_S6_S3_S6_PS1_21rocsparse_index_base_S8_S8_S8_bb.kd
    .uniform_work_group_size: 1
    .uses_dynamic_stack: false
    .vgpr_count:     20
    .vgpr_spill_count: 0
    .wavefront_size: 32
  - .args:
      - .offset:         0
        .size:           4
        .value_kind:     by_value
      - .offset:         4
        .size:           4
        .value_kind:     by_value
      - .actual_access:  read_only
        .address_space:  global
        .offset:         8
        .size:           8
        .value_kind:     global_buffer
      - .actual_access:  read_only
        .address_space:  global
        .offset:         16
        .size:           8
        .value_kind:     global_buffer
      - .actual_access:  read_only
        .address_space:  global
        .offset:         24
        .size:           8
        .value_kind:     global_buffer
      - .actual_access:  read_only
        .address_space:  global
        .offset:         32
        .size:           8
        .value_kind:     global_buffer
      - .actual_access:  read_only
        .address_space:  global
        .offset:         40
        .size:           8
        .value_kind:     global_buffer
      - .actual_access:  read_only
        .address_space:  global
        .offset:         48
        .size:           8
        .value_kind:     global_buffer
      - .actual_access:  read_only
        .address_space:  global
        .offset:         56
        .size:           8
        .value_kind:     global_buffer
      - .actual_access:  read_only
        .address_space:  global
        .offset:         64
        .size:           8
        .value_kind:     global_buffer
      - .actual_access:  read_only
        .address_space:  global
        .offset:         72
        .size:           8
        .value_kind:     global_buffer
      - .actual_access:  write_only
        .address_space:  global
        .offset:         80
        .size:           8
        .value_kind:     global_buffer
      - .offset:         88
        .size:           4
        .value_kind:     by_value
      - .offset:         92
        .size:           4
        .value_kind:     by_value
      - .offset:         96
        .size:           4
        .value_kind:     by_value
      - .offset:         100
        .size:           4
        .value_kind:     by_value
      - .offset:         104
        .size:           1
        .value_kind:     by_value
      - .offset:         105
        .size:           1
        .value_kind:     by_value
    .group_segment_fixed_size: 2048
    .kernarg_segment_align: 8
    .kernarg_segment_size: 108
    .language:       OpenCL C
    .language_version:
      - 2
      - 0
    .max_flat_workgroup_size: 256
    .name:           _ZN9rocsparseL32csrgemm_symbolic_fill_wf_per_rowILj256ELj16ELj32ELj137EliEEvT4_S1_PKS1_S3_PKT3_S3_S6_S3_S6_S3_S6_PS1_21rocsparse_index_base_S8_S8_S8_bb
    .private_segment_fixed_size: 0
    .sgpr_count:     27
    .sgpr_spill_count: 0
    .symbol:         _ZN9rocsparseL32csrgemm_symbolic_fill_wf_per_rowILj256ELj16ELj32ELj137EliEEvT4_S1_PKS1_S3_PKT3_S3_S6_S3_S6_S3_S6_PS1_21rocsparse_index_base_S8_S8_S8_bb.kd
    .uniform_work_group_size: 1
    .uses_dynamic_stack: false
    .vgpr_count:     20
    .vgpr_spill_count: 0
    .wavefront_size: 32
  - .args:
      - .offset:         0
        .size:           4
        .value_kind:     by_value
      - .actual_access:  read_only
        .address_space:  global
        .offset:         8
        .size:           8
        .value_kind:     global_buffer
      - .actual_access:  read_only
        .address_space:  global
        .offset:         16
        .size:           8
        .value_kind:     global_buffer
      - .actual_access:  read_only
        .address_space:  global
        .offset:         24
        .size:           8
        .value_kind:     global_buffer
      - .actual_access:  read_only
        .address_space:  global
        .offset:         32
        .size:           8
        .value_kind:     global_buffer
      - .actual_access:  read_only
        .address_space:  global
        .offset:         40
        .size:           8
        .value_kind:     global_buffer
      - .actual_access:  read_only
        .address_space:  global
        .offset:         48
        .size:           8
        .value_kind:     global_buffer
      - .actual_access:  read_only
        .address_space:  global
        .offset:         56
        .size:           8
        .value_kind:     global_buffer
      - .actual_access:  read_only
        .address_space:  global
        .offset:         64
        .size:           8
        .value_kind:     global_buffer
      - .actual_access:  read_only
        .address_space:  global
        .offset:         72
        .size:           8
        .value_kind:     global_buffer
      - .actual_access:  write_only
        .address_space:  global
        .offset:         80
        .size:           8
        .value_kind:     global_buffer
      - .offset:         88
        .size:           4
        .value_kind:     by_value
      - .offset:         92
        .size:           4
        .value_kind:     by_value
      - .offset:         96
        .size:           4
        .value_kind:     by_value
      - .offset:         100
        .size:           4
        .value_kind:     by_value
      - .offset:         104
        .size:           1
        .value_kind:     by_value
      - .offset:         105
        .size:           1
        .value_kind:     by_value
    .group_segment_fixed_size: 0
    .kernarg_segment_align: 8
    .kernarg_segment_size: 108
    .language:       OpenCL C
    .language_version:
      - 2
      - 0
    .max_flat_workgroup_size: 128
    .name:           _ZN9rocsparseL35csrgemm_symbolic_fill_block_per_rowILj128ELj16ELj256ELj137ELj32EliEEvT5_PKS1_S3_PKT4_S3_S6_S3_S6_S3_S6_PS1_21rocsparse_index_base_S8_S8_S8_bb
    .private_segment_fixed_size: 0
    .sgpr_count:     42
    .sgpr_spill_count: 0
    .symbol:         _ZN9rocsparseL35csrgemm_symbolic_fill_block_per_rowILj128ELj16ELj256ELj137ELj32EliEEvT5_PKS1_S3_PKT4_S3_S6_S3_S6_S3_S6_PS1_21rocsparse_index_base_S8_S8_S8_bb.kd
    .uniform_work_group_size: 1
    .uses_dynamic_stack: false
    .vgpr_count:     16
    .vgpr_spill_count: 0
    .wavefront_size: 32
  - .args:
      - .offset:         0
        .size:           4
        .value_kind:     by_value
      - .actual_access:  read_only
        .address_space:  global
        .offset:         8
        .size:           8
        .value_kind:     global_buffer
      - .actual_access:  read_only
        .address_space:  global
        .offset:         16
        .size:           8
        .value_kind:     global_buffer
      - .actual_access:  read_only
        .address_space:  global
        .offset:         24
        .size:           8
        .value_kind:     global_buffer
      - .actual_access:  read_only
        .address_space:  global
        .offset:         32
        .size:           8
        .value_kind:     global_buffer
      - .actual_access:  read_only
        .address_space:  global
        .offset:         40
        .size:           8
        .value_kind:     global_buffer
      - .actual_access:  read_only
        .address_space:  global
        .offset:         48
        .size:           8
        .value_kind:     global_buffer
      - .actual_access:  read_only
        .address_space:  global
        .offset:         56
        .size:           8
        .value_kind:     global_buffer
      - .actual_access:  read_only
        .address_space:  global
        .offset:         64
        .size:           8
        .value_kind:     global_buffer
      - .actual_access:  read_only
        .address_space:  global
        .offset:         72
        .size:           8
        .value_kind:     global_buffer
      - .actual_access:  write_only
        .address_space:  global
        .offset:         80
        .size:           8
        .value_kind:     global_buffer
      - .offset:         88
        .size:           4
        .value_kind:     by_value
      - .offset:         92
        .size:           4
        .value_kind:     by_value
      - .offset:         96
        .size:           4
        .value_kind:     by_value
      - .offset:         100
        .size:           4
        .value_kind:     by_value
      - .offset:         104
        .size:           1
        .value_kind:     by_value
      - .offset:         105
        .size:           1
        .value_kind:     by_value
    .group_segment_fixed_size: 0
    .kernarg_segment_align: 8
    .kernarg_segment_size: 108
    .language:       OpenCL C
    .language_version:
      - 2
      - 0
    .max_flat_workgroup_size: 128
    .name:           _ZN9rocsparseL35csrgemm_symbolic_fill_block_per_rowILj128ELj16ELj256ELj137ELj64EliEEvT5_PKS1_S3_PKT4_S3_S6_S3_S6_S3_S6_PS1_21rocsparse_index_base_S8_S8_S8_bb
    .private_segment_fixed_size: 0
    .sgpr_count:     37
    .sgpr_spill_count: 0
    .symbol:         _ZN9rocsparseL35csrgemm_symbolic_fill_block_per_rowILj128ELj16ELj256ELj137ELj64EliEEvT5_PKS1_S3_PKT4_S3_S6_S3_S6_S3_S6_PS1_21rocsparse_index_base_S8_S8_S8_bb.kd
    .uniform_work_group_size: 1
    .uses_dynamic_stack: false
    .vgpr_count:     18
    .vgpr_spill_count: 0
    .wavefront_size: 32
  - .args:
      - .offset:         0
        .size:           4
        .value_kind:     by_value
      - .actual_access:  read_only
        .address_space:  global
        .offset:         8
        .size:           8
        .value_kind:     global_buffer
      - .actual_access:  read_only
        .address_space:  global
        .offset:         16
        .size:           8
        .value_kind:     global_buffer
      - .actual_access:  read_only
        .address_space:  global
        .offset:         24
        .size:           8
        .value_kind:     global_buffer
      - .actual_access:  read_only
        .address_space:  global
        .offset:         32
        .size:           8
        .value_kind:     global_buffer
      - .actual_access:  read_only
        .address_space:  global
        .offset:         40
        .size:           8
        .value_kind:     global_buffer
      - .actual_access:  read_only
        .address_space:  global
        .offset:         48
        .size:           8
        .value_kind:     global_buffer
      - .actual_access:  read_only
        .address_space:  global
        .offset:         56
        .size:           8
        .value_kind:     global_buffer
      - .actual_access:  read_only
        .address_space:  global
        .offset:         64
        .size:           8
        .value_kind:     global_buffer
      - .actual_access:  read_only
        .address_space:  global
        .offset:         72
        .size:           8
        .value_kind:     global_buffer
      - .actual_access:  write_only
        .address_space:  global
        .offset:         80
        .size:           8
        .value_kind:     global_buffer
      - .offset:         88
        .size:           4
        .value_kind:     by_value
      - .offset:         92
        .size:           4
        .value_kind:     by_value
      - .offset:         96
        .size:           4
        .value_kind:     by_value
      - .offset:         100
        .size:           4
        .value_kind:     by_value
      - .offset:         104
        .size:           1
        .value_kind:     by_value
      - .offset:         105
        .size:           1
        .value_kind:     by_value
    .group_segment_fixed_size: 0
    .kernarg_segment_align: 8
    .kernarg_segment_size: 108
    .language:       OpenCL C
    .language_version:
      - 2
      - 0
    .max_flat_workgroup_size: 256
    .name:           _ZN9rocsparseL35csrgemm_symbolic_fill_block_per_rowILj256ELj32ELj512ELj137ELj32EliEEvT5_PKS1_S3_PKT4_S3_S6_S3_S6_S3_S6_PS1_21rocsparse_index_base_S8_S8_S8_bb
    .private_segment_fixed_size: 0
    .sgpr_count:     42
    .sgpr_spill_count: 0
    .symbol:         _ZN9rocsparseL35csrgemm_symbolic_fill_block_per_rowILj256ELj32ELj512ELj137ELj32EliEEvT5_PKS1_S3_PKT4_S3_S6_S3_S6_S3_S6_PS1_21rocsparse_index_base_S8_S8_S8_bb.kd
    .uniform_work_group_size: 1
    .uses_dynamic_stack: false
    .vgpr_count:     18
    .vgpr_spill_count: 0
    .wavefront_size: 32
  - .args:
      - .offset:         0
        .size:           4
        .value_kind:     by_value
      - .actual_access:  read_only
        .address_space:  global
        .offset:         8
        .size:           8
        .value_kind:     global_buffer
      - .actual_access:  read_only
        .address_space:  global
        .offset:         16
        .size:           8
        .value_kind:     global_buffer
      - .actual_access:  read_only
        .address_space:  global
        .offset:         24
        .size:           8
        .value_kind:     global_buffer
      - .actual_access:  read_only
        .address_space:  global
        .offset:         32
        .size:           8
        .value_kind:     global_buffer
      - .actual_access:  read_only
        .address_space:  global
        .offset:         40
        .size:           8
        .value_kind:     global_buffer
      - .actual_access:  read_only
        .address_space:  global
        .offset:         48
        .size:           8
        .value_kind:     global_buffer
      - .actual_access:  read_only
        .address_space:  global
        .offset:         56
        .size:           8
        .value_kind:     global_buffer
      - .actual_access:  read_only
        .address_space:  global
        .offset:         64
        .size:           8
        .value_kind:     global_buffer
      - .actual_access:  read_only
        .address_space:  global
        .offset:         72
        .size:           8
        .value_kind:     global_buffer
      - .actual_access:  write_only
        .address_space:  global
        .offset:         80
        .size:           8
        .value_kind:     global_buffer
      - .offset:         88
        .size:           4
        .value_kind:     by_value
      - .offset:         92
        .size:           4
        .value_kind:     by_value
      - .offset:         96
        .size:           4
        .value_kind:     by_value
      - .offset:         100
        .size:           4
        .value_kind:     by_value
      - .offset:         104
        .size:           1
        .value_kind:     by_value
      - .offset:         105
        .size:           1
        .value_kind:     by_value
    .group_segment_fixed_size: 0
    .kernarg_segment_align: 8
    .kernarg_segment_size: 108
    .language:       OpenCL C
    .language_version:
      - 2
      - 0
    .max_flat_workgroup_size: 256
    .name:           _ZN9rocsparseL35csrgemm_symbolic_fill_block_per_rowILj256ELj32ELj512ELj137ELj64EliEEvT5_PKS1_S3_PKT4_S3_S6_S3_S6_S3_S6_PS1_21rocsparse_index_base_S8_S8_S8_bb
    .private_segment_fixed_size: 0
    .sgpr_count:     42
    .sgpr_spill_count: 0
    .symbol:         _ZN9rocsparseL35csrgemm_symbolic_fill_block_per_rowILj256ELj32ELj512ELj137ELj64EliEEvT5_PKS1_S3_PKT4_S3_S6_S3_S6_S3_S6_PS1_21rocsparse_index_base_S8_S8_S8_bb.kd
    .uniform_work_group_size: 1
    .uses_dynamic_stack: false
    .vgpr_count:     16
    .vgpr_spill_count: 0
    .wavefront_size: 32
  - .args:
      - .offset:         0
        .size:           4
        .value_kind:     by_value
      - .actual_access:  read_only
        .address_space:  global
        .offset:         8
        .size:           8
        .value_kind:     global_buffer
      - .actual_access:  read_only
        .address_space:  global
        .offset:         16
        .size:           8
        .value_kind:     global_buffer
      - .actual_access:  read_only
        .address_space:  global
        .offset:         24
        .size:           8
        .value_kind:     global_buffer
      - .actual_access:  read_only
        .address_space:  global
        .offset:         32
        .size:           8
        .value_kind:     global_buffer
      - .actual_access:  read_only
        .address_space:  global
        .offset:         40
        .size:           8
        .value_kind:     global_buffer
      - .actual_access:  read_only
        .address_space:  global
        .offset:         48
        .size:           8
        .value_kind:     global_buffer
      - .actual_access:  read_only
        .address_space:  global
        .offset:         56
        .size:           8
        .value_kind:     global_buffer
      - .actual_access:  read_only
        .address_space:  global
        .offset:         64
        .size:           8
        .value_kind:     global_buffer
      - .actual_access:  read_only
        .address_space:  global
        .offset:         72
        .size:           8
        .value_kind:     global_buffer
      - .actual_access:  write_only
        .address_space:  global
        .offset:         80
        .size:           8
        .value_kind:     global_buffer
      - .offset:         88
        .size:           4
        .value_kind:     by_value
      - .offset:         92
        .size:           4
        .value_kind:     by_value
      - .offset:         96
        .size:           4
        .value_kind:     by_value
      - .offset:         100
        .size:           4
        .value_kind:     by_value
      - .offset:         104
        .size:           1
        .value_kind:     by_value
      - .offset:         105
        .size:           1
        .value_kind:     by_value
    .group_segment_fixed_size: 0
    .kernarg_segment_align: 8
    .kernarg_segment_size: 108
    .language:       OpenCL C
    .language_version:
      - 2
      - 0
    .max_flat_workgroup_size: 512
    .name:           _ZN9rocsparseL35csrgemm_symbolic_fill_block_per_rowILj512ELj32ELj1024ELj137ELj32EliEEvT5_PKS1_S3_PKT4_S3_S6_S3_S6_S3_S6_PS1_21rocsparse_index_base_S8_S8_S8_bb
    .private_segment_fixed_size: 0
    .sgpr_count:     42
    .sgpr_spill_count: 0
    .symbol:         _ZN9rocsparseL35csrgemm_symbolic_fill_block_per_rowILj512ELj32ELj1024ELj137ELj32EliEEvT5_PKS1_S3_PKT4_S3_S6_S3_S6_S3_S6_PS1_21rocsparse_index_base_S8_S8_S8_bb.kd
    .uniform_work_group_size: 1
    .uses_dynamic_stack: false
    .vgpr_count:     18
    .vgpr_spill_count: 0
    .wavefront_size: 32
  - .args:
      - .offset:         0
        .size:           4
        .value_kind:     by_value
      - .actual_access:  read_only
        .address_space:  global
        .offset:         8
        .size:           8
        .value_kind:     global_buffer
      - .actual_access:  read_only
        .address_space:  global
        .offset:         16
        .size:           8
        .value_kind:     global_buffer
      - .actual_access:  read_only
        .address_space:  global
        .offset:         24
        .size:           8
        .value_kind:     global_buffer
      - .actual_access:  read_only
        .address_space:  global
        .offset:         32
        .size:           8
        .value_kind:     global_buffer
      - .actual_access:  read_only
        .address_space:  global
        .offset:         40
        .size:           8
        .value_kind:     global_buffer
      - .actual_access:  read_only
        .address_space:  global
        .offset:         48
        .size:           8
        .value_kind:     global_buffer
      - .actual_access:  read_only
        .address_space:  global
        .offset:         56
        .size:           8
        .value_kind:     global_buffer
      - .actual_access:  read_only
        .address_space:  global
        .offset:         64
        .size:           8
        .value_kind:     global_buffer
      - .actual_access:  read_only
        .address_space:  global
        .offset:         72
        .size:           8
        .value_kind:     global_buffer
      - .actual_access:  write_only
        .address_space:  global
        .offset:         80
        .size:           8
        .value_kind:     global_buffer
      - .offset:         88
        .size:           4
        .value_kind:     by_value
      - .offset:         92
        .size:           4
        .value_kind:     by_value
      - .offset:         96
        .size:           4
        .value_kind:     by_value
      - .offset:         100
        .size:           4
        .value_kind:     by_value
      - .offset:         104
        .size:           1
        .value_kind:     by_value
      - .offset:         105
        .size:           1
        .value_kind:     by_value
    .group_segment_fixed_size: 0
    .kernarg_segment_align: 8
    .kernarg_segment_size: 108
    .language:       OpenCL C
    .language_version:
      - 2
      - 0
    .max_flat_workgroup_size: 512
    .name:           _ZN9rocsparseL35csrgemm_symbolic_fill_block_per_rowILj512ELj32ELj1024ELj137ELj64EliEEvT5_PKS1_S3_PKT4_S3_S6_S3_S6_S3_S6_PS1_21rocsparse_index_base_S8_S8_S8_bb
    .private_segment_fixed_size: 0
    .sgpr_count:     42
    .sgpr_spill_count: 0
    .symbol:         _ZN9rocsparseL35csrgemm_symbolic_fill_block_per_rowILj512ELj32ELj1024ELj137ELj64EliEEvT5_PKS1_S3_PKT4_S3_S6_S3_S6_S3_S6_PS1_21rocsparse_index_base_S8_S8_S8_bb.kd
    .uniform_work_group_size: 1
    .uses_dynamic_stack: false
    .vgpr_count:     16
    .vgpr_spill_count: 0
    .wavefront_size: 32
  - .args:
      - .offset:         0
        .size:           4
        .value_kind:     by_value
      - .actual_access:  read_only
        .address_space:  global
        .offset:         8
        .size:           8
        .value_kind:     global_buffer
      - .actual_access:  read_only
        .address_space:  global
        .offset:         16
        .size:           8
        .value_kind:     global_buffer
      - .actual_access:  read_only
        .address_space:  global
        .offset:         24
        .size:           8
        .value_kind:     global_buffer
      - .actual_access:  read_only
        .address_space:  global
        .offset:         32
        .size:           8
        .value_kind:     global_buffer
      - .actual_access:  read_only
        .address_space:  global
        .offset:         40
        .size:           8
        .value_kind:     global_buffer
      - .actual_access:  read_only
        .address_space:  global
        .offset:         48
        .size:           8
        .value_kind:     global_buffer
      - .actual_access:  read_only
        .address_space:  global
        .offset:         56
        .size:           8
        .value_kind:     global_buffer
      - .actual_access:  read_only
        .address_space:  global
        .offset:         64
        .size:           8
        .value_kind:     global_buffer
      - .actual_access:  read_only
        .address_space:  global
        .offset:         72
        .size:           8
        .value_kind:     global_buffer
      - .actual_access:  write_only
        .address_space:  global
        .offset:         80
        .size:           8
        .value_kind:     global_buffer
      - .offset:         88
        .size:           4
        .value_kind:     by_value
      - .offset:         92
        .size:           4
        .value_kind:     by_value
      - .offset:         96
        .size:           4
        .value_kind:     by_value
      - .offset:         100
        .size:           4
        .value_kind:     by_value
      - .offset:         104
        .size:           1
        .value_kind:     by_value
      - .offset:         105
        .size:           1
        .value_kind:     by_value
    .group_segment_fixed_size: 0
    .kernarg_segment_align: 8
    .kernarg_segment_size: 108
    .language:       OpenCL C
    .language_version:
      - 2
      - 0
    .max_flat_workgroup_size: 1024
    .name:           _ZN9rocsparseL35csrgemm_symbolic_fill_block_per_rowILj1024ELj32ELj2048ELj137ELj32EliEEvT5_PKS1_S3_PKT4_S3_S6_S3_S6_S3_S6_PS1_21rocsparse_index_base_S8_S8_S8_bb
    .private_segment_fixed_size: 0
    .sgpr_count:     46
    .sgpr_spill_count: 0
    .symbol:         _ZN9rocsparseL35csrgemm_symbolic_fill_block_per_rowILj1024ELj32ELj2048ELj137ELj32EliEEvT5_PKS1_S3_PKT4_S3_S6_S3_S6_S3_S6_PS1_21rocsparse_index_base_S8_S8_S8_bb.kd
    .uniform_work_group_size: 1
    .uses_dynamic_stack: false
    .vgpr_count:     18
    .vgpr_spill_count: 0
    .wavefront_size: 32
  - .args:
      - .offset:         0
        .size:           4
        .value_kind:     by_value
      - .actual_access:  read_only
        .address_space:  global
        .offset:         8
        .size:           8
        .value_kind:     global_buffer
      - .actual_access:  read_only
        .address_space:  global
        .offset:         16
        .size:           8
        .value_kind:     global_buffer
      - .actual_access:  read_only
        .address_space:  global
        .offset:         24
        .size:           8
        .value_kind:     global_buffer
      - .actual_access:  read_only
        .address_space:  global
        .offset:         32
        .size:           8
        .value_kind:     global_buffer
      - .actual_access:  read_only
        .address_space:  global
        .offset:         40
        .size:           8
        .value_kind:     global_buffer
      - .actual_access:  read_only
        .address_space:  global
        .offset:         48
        .size:           8
        .value_kind:     global_buffer
      - .actual_access:  read_only
        .address_space:  global
        .offset:         56
        .size:           8
        .value_kind:     global_buffer
      - .actual_access:  read_only
        .address_space:  global
        .offset:         64
        .size:           8
        .value_kind:     global_buffer
      - .actual_access:  read_only
        .address_space:  global
        .offset:         72
        .size:           8
        .value_kind:     global_buffer
      - .actual_access:  write_only
        .address_space:  global
        .offset:         80
        .size:           8
        .value_kind:     global_buffer
      - .offset:         88
        .size:           4
        .value_kind:     by_value
      - .offset:         92
        .size:           4
        .value_kind:     by_value
      - .offset:         96
        .size:           4
        .value_kind:     by_value
      - .offset:         100
        .size:           4
        .value_kind:     by_value
      - .offset:         104
        .size:           1
        .value_kind:     by_value
      - .offset:         105
        .size:           1
        .value_kind:     by_value
    .group_segment_fixed_size: 0
    .kernarg_segment_align: 8
    .kernarg_segment_size: 108
    .language:       OpenCL C
    .language_version:
      - 2
      - 0
    .max_flat_workgroup_size: 1024
    .name:           _ZN9rocsparseL35csrgemm_symbolic_fill_block_per_rowILj1024ELj32ELj2048ELj137ELj64EliEEvT5_PKS1_S3_PKT4_S3_S6_S3_S6_S3_S6_PS1_21rocsparse_index_base_S8_S8_S8_bb
    .private_segment_fixed_size: 0
    .sgpr_count:     30
    .sgpr_spill_count: 0
    .symbol:         _ZN9rocsparseL35csrgemm_symbolic_fill_block_per_rowILj1024ELj32ELj2048ELj137ELj64EliEEvT5_PKS1_S3_PKT4_S3_S6_S3_S6_S3_S6_PS1_21rocsparse_index_base_S8_S8_S8_bb.kd
    .uniform_work_group_size: 1
    .uses_dynamic_stack: false
    .vgpr_count:     16
    .vgpr_spill_count: 0
    .wavefront_size: 32
  - .args:
      - .offset:         0
        .size:           4
        .value_kind:     by_value
      - .actual_access:  read_only
        .address_space:  global
        .offset:         8
        .size:           8
        .value_kind:     global_buffer
      - .actual_access:  read_only
        .address_space:  global
        .offset:         16
        .size:           8
        .value_kind:     global_buffer
      - .actual_access:  read_only
        .address_space:  global
        .offset:         24
        .size:           8
        .value_kind:     global_buffer
      - .actual_access:  read_only
        .address_space:  global
        .offset:         32
        .size:           8
        .value_kind:     global_buffer
      - .actual_access:  read_only
        .address_space:  global
        .offset:         40
        .size:           8
        .value_kind:     global_buffer
      - .actual_access:  read_only
        .address_space:  global
        .offset:         48
        .size:           8
        .value_kind:     global_buffer
      - .actual_access:  read_only
        .address_space:  global
        .offset:         56
        .size:           8
        .value_kind:     global_buffer
      - .actual_access:  read_only
        .address_space:  global
        .offset:         64
        .size:           8
        .value_kind:     global_buffer
      - .actual_access:  read_only
        .address_space:  global
        .offset:         72
        .size:           8
        .value_kind:     global_buffer
      - .actual_access:  write_only
        .address_space:  global
        .offset:         80
        .size:           8
        .value_kind:     global_buffer
      - .offset:         88
        .size:           4
        .value_kind:     by_value
      - .offset:         92
        .size:           4
        .value_kind:     by_value
      - .offset:         96
        .size:           4
        .value_kind:     by_value
      - .offset:         100
        .size:           4
        .value_kind:     by_value
      - .offset:         104
        .size:           1
        .value_kind:     by_value
      - .offset:         105
        .size:           1
        .value_kind:     by_value
    .group_segment_fixed_size: 0
    .kernarg_segment_align: 8
    .kernarg_segment_size: 108
    .language:       OpenCL C
    .language_version:
      - 2
      - 0
    .max_flat_workgroup_size: 1024
    .name:           _ZN9rocsparseL35csrgemm_symbolic_fill_block_per_rowILj1024ELj64ELj4096ELj137ELj32EliEEvT5_PKS1_S3_PKT4_S3_S6_S3_S6_S3_S6_PS1_21rocsparse_index_base_S8_S8_S8_bb
    .private_segment_fixed_size: 0
    .sgpr_count:     46
    .sgpr_spill_count: 0
    .symbol:         _ZN9rocsparseL35csrgemm_symbolic_fill_block_per_rowILj1024ELj64ELj4096ELj137ELj32EliEEvT5_PKS1_S3_PKT4_S3_S6_S3_S6_S3_S6_PS1_21rocsparse_index_base_S8_S8_S8_bb.kd
    .uniform_work_group_size: 1
    .uses_dynamic_stack: false
    .vgpr_count:     16
    .vgpr_spill_count: 0
    .wavefront_size: 32
  - .args:
      - .offset:         0
        .size:           4
        .value_kind:     by_value
      - .actual_access:  read_only
        .address_space:  global
        .offset:         8
        .size:           8
        .value_kind:     global_buffer
      - .actual_access:  read_only
        .address_space:  global
        .offset:         16
        .size:           8
        .value_kind:     global_buffer
      - .actual_access:  read_only
        .address_space:  global
        .offset:         24
        .size:           8
        .value_kind:     global_buffer
      - .actual_access:  read_only
        .address_space:  global
        .offset:         32
        .size:           8
        .value_kind:     global_buffer
      - .actual_access:  read_only
        .address_space:  global
        .offset:         40
        .size:           8
        .value_kind:     global_buffer
      - .actual_access:  read_only
        .address_space:  global
        .offset:         48
        .size:           8
        .value_kind:     global_buffer
      - .actual_access:  read_only
        .address_space:  global
        .offset:         56
        .size:           8
        .value_kind:     global_buffer
      - .actual_access:  read_only
        .address_space:  global
        .offset:         64
        .size:           8
        .value_kind:     global_buffer
      - .actual_access:  read_only
        .address_space:  global
        .offset:         72
        .size:           8
        .value_kind:     global_buffer
      - .actual_access:  write_only
        .address_space:  global
        .offset:         80
        .size:           8
        .value_kind:     global_buffer
      - .offset:         88
        .size:           4
        .value_kind:     by_value
      - .offset:         92
        .size:           4
        .value_kind:     by_value
      - .offset:         96
        .size:           4
        .value_kind:     by_value
      - .offset:         100
        .size:           4
        .value_kind:     by_value
      - .offset:         104
        .size:           1
        .value_kind:     by_value
      - .offset:         105
        .size:           1
        .value_kind:     by_value
    .group_segment_fixed_size: 0
    .kernarg_segment_align: 8
    .kernarg_segment_size: 108
    .language:       OpenCL C
    .language_version:
      - 2
      - 0
    .max_flat_workgroup_size: 1024
    .name:           _ZN9rocsparseL35csrgemm_symbolic_fill_block_per_rowILj1024ELj64ELj4096ELj137ELj64EliEEvT5_PKS1_S3_PKT4_S3_S6_S3_S6_S3_S6_PS1_21rocsparse_index_base_S8_S8_S8_bb
    .private_segment_fixed_size: 0
    .sgpr_count:     30
    .sgpr_spill_count: 0
    .symbol:         _ZN9rocsparseL35csrgemm_symbolic_fill_block_per_rowILj1024ELj64ELj4096ELj137ELj64EliEEvT5_PKS1_S3_PKT4_S3_S6_S3_S6_S3_S6_PS1_21rocsparse_index_base_S8_S8_S8_bb.kd
    .uniform_work_group_size: 1
    .uses_dynamic_stack: false
    .vgpr_count:     18
    .vgpr_spill_count: 0
    .wavefront_size: 32
  - .args:
      - .offset:         0
        .size:           4
        .value_kind:     by_value
      - .actual_access:  read_only
        .address_space:  global
        .offset:         8
        .size:           8
        .value_kind:     global_buffer
      - .actual_access:  read_only
        .address_space:  global
        .offset:         16
        .size:           8
        .value_kind:     global_buffer
      - .actual_access:  read_only
        .address_space:  global
        .offset:         24
        .size:           8
        .value_kind:     global_buffer
      - .actual_access:  read_only
        .address_space:  global
        .offset:         32
        .size:           8
        .value_kind:     global_buffer
      - .actual_access:  read_only
        .address_space:  global
        .offset:         40
        .size:           8
        .value_kind:     global_buffer
      - .actual_access:  read_only
        .address_space:  global
        .offset:         48
        .size:           8
        .value_kind:     global_buffer
      - .actual_access:  read_only
        .address_space:  global
        .offset:         56
        .size:           8
        .value_kind:     global_buffer
      - .actual_access:  read_only
        .address_space:  global
        .offset:         64
        .size:           8
        .value_kind:     global_buffer
      - .actual_access:  read_only
        .address_space:  global
        .offset:         72
        .size:           8
        .value_kind:     global_buffer
      - .actual_access:  write_only
        .address_space:  global
        .offset:         80
        .size:           8
        .value_kind:     global_buffer
      - .offset:         88
        .size:           4
        .value_kind:     by_value
      - .offset:         92
        .size:           4
        .value_kind:     by_value
      - .offset:         96
        .size:           4
        .value_kind:     by_value
      - .offset:         100
        .size:           4
        .value_kind:     by_value
      - .offset:         104
        .size:           1
        .value_kind:     by_value
      - .offset:         105
        .size:           1
        .value_kind:     by_value
    .group_segment_fixed_size: 0
    .kernarg_segment_align: 8
    .kernarg_segment_size: 108
    .language:       OpenCL C
    .language_version:
      - 2
      - 0
    .max_flat_workgroup_size: 1024
    .name:           _ZN9rocsparseL35csrgemm_symbolic_fill_block_per_rowILj1024ELj64ELj8192ELj137ELj32EliEEvT5_PKS1_S3_PKT4_S3_S6_S3_S6_S3_S6_PS1_21rocsparse_index_base_S8_S8_S8_bb
    .private_segment_fixed_size: 0
    .sgpr_count:     46
    .sgpr_spill_count: 0
    .symbol:         _ZN9rocsparseL35csrgemm_symbolic_fill_block_per_rowILj1024ELj64ELj8192ELj137ELj32EliEEvT5_PKS1_S3_PKT4_S3_S6_S3_S6_S3_S6_PS1_21rocsparse_index_base_S8_S8_S8_bb.kd
    .uniform_work_group_size: 1
    .uses_dynamic_stack: false
    .vgpr_count:     16
    .vgpr_spill_count: 0
    .wavefront_size: 32
  - .args:
      - .offset:         0
        .size:           4
        .value_kind:     by_value
      - .actual_access:  read_only
        .address_space:  global
        .offset:         8
        .size:           8
        .value_kind:     global_buffer
      - .actual_access:  read_only
        .address_space:  global
        .offset:         16
        .size:           8
        .value_kind:     global_buffer
      - .actual_access:  read_only
        .address_space:  global
        .offset:         24
        .size:           8
        .value_kind:     global_buffer
      - .actual_access:  read_only
        .address_space:  global
        .offset:         32
        .size:           8
        .value_kind:     global_buffer
      - .actual_access:  read_only
        .address_space:  global
        .offset:         40
        .size:           8
        .value_kind:     global_buffer
      - .actual_access:  read_only
        .address_space:  global
        .offset:         48
        .size:           8
        .value_kind:     global_buffer
      - .actual_access:  read_only
        .address_space:  global
        .offset:         56
        .size:           8
        .value_kind:     global_buffer
      - .actual_access:  read_only
        .address_space:  global
        .offset:         64
        .size:           8
        .value_kind:     global_buffer
      - .actual_access:  read_only
        .address_space:  global
        .offset:         72
        .size:           8
        .value_kind:     global_buffer
      - .actual_access:  write_only
        .address_space:  global
        .offset:         80
        .size:           8
        .value_kind:     global_buffer
      - .offset:         88
        .size:           4
        .value_kind:     by_value
      - .offset:         92
        .size:           4
        .value_kind:     by_value
      - .offset:         96
        .size:           4
        .value_kind:     by_value
      - .offset:         100
        .size:           4
        .value_kind:     by_value
      - .offset:         104
        .size:           1
        .value_kind:     by_value
      - .offset:         105
        .size:           1
        .value_kind:     by_value
    .group_segment_fixed_size: 0
    .kernarg_segment_align: 8
    .kernarg_segment_size: 108
    .language:       OpenCL C
    .language_version:
      - 2
      - 0
    .max_flat_workgroup_size: 1024
    .name:           _ZN9rocsparseL35csrgemm_symbolic_fill_block_per_rowILj1024ELj64ELj8192ELj137ELj64EliEEvT5_PKS1_S3_PKT4_S3_S6_S3_S6_S3_S6_PS1_21rocsparse_index_base_S8_S8_S8_bb
    .private_segment_fixed_size: 0
    .sgpr_count:     30
    .sgpr_spill_count: 0
    .symbol:         _ZN9rocsparseL35csrgemm_symbolic_fill_block_per_rowILj1024ELj64ELj8192ELj137ELj64EliEEvT5_PKS1_S3_PKT4_S3_S6_S3_S6_S3_S6_PS1_21rocsparse_index_base_S8_S8_S8_bb.kd
    .uniform_work_group_size: 1
    .uses_dynamic_stack: false
    .vgpr_count:     18
    .vgpr_spill_count: 0
    .wavefront_size: 32
  - .args:
      - .offset:         0
        .size:           4
        .value_kind:     by_value
      - .actual_access:  read_only
        .address_space:  global
        .offset:         8
        .size:           8
        .value_kind:     global_buffer
      - .actual_access:  read_only
        .address_space:  global
        .offset:         16
        .size:           8
        .value_kind:     global_buffer
      - .actual_access:  read_only
        .address_space:  global
        .offset:         24
        .size:           8
        .value_kind:     global_buffer
      - .actual_access:  read_only
        .address_space:  global
        .offset:         32
        .size:           8
        .value_kind:     global_buffer
      - .actual_access:  read_only
        .address_space:  global
        .offset:         40
        .size:           8
        .value_kind:     global_buffer
      - .actual_access:  read_only
        .address_space:  global
        .offset:         48
        .size:           8
        .value_kind:     global_buffer
      - .actual_access:  read_only
        .address_space:  global
        .offset:         56
        .size:           8
        .value_kind:     global_buffer
      - .actual_access:  read_only
        .address_space:  global
        .offset:         64
        .size:           8
        .value_kind:     global_buffer
      - .actual_access:  read_only
        .address_space:  global
        .offset:         72
        .size:           8
        .value_kind:     global_buffer
      - .actual_access:  write_only
        .address_space:  global
        .offset:         80
        .size:           8
        .value_kind:     global_buffer
      - .offset:         88
        .size:           4
        .value_kind:     by_value
      - .offset:         92
        .size:           4
        .value_kind:     by_value
      - .offset:         96
        .size:           4
        .value_kind:     by_value
      - .offset:         100
        .size:           4
        .value_kind:     by_value
      - .offset:         104
        .size:           1
        .value_kind:     by_value
      - .offset:         105
        .size:           1
        .value_kind:     by_value
    .group_segment_fixed_size: 0
    .kernarg_segment_align: 8
    .kernarg_segment_size: 108
    .language:       OpenCL C
    .language_version:
      - 2
      - 0
    .max_flat_workgroup_size: 1024
    .name:           _ZN9rocsparseL35csrgemm_symbolic_fill_block_per_rowILj1024ELj64ELj16384ELj137ELj32EliEEvT5_PKS1_S3_PKT4_S3_S6_S3_S6_S3_S6_PS1_21rocsparse_index_base_S8_S8_S8_bb
    .private_segment_fixed_size: 0
    .sgpr_count:     76
    .sgpr_spill_count: 0
    .symbol:         _ZN9rocsparseL35csrgemm_symbolic_fill_block_per_rowILj1024ELj64ELj16384ELj137ELj32EliEEvT5_PKS1_S3_PKT4_S3_S6_S3_S6_S3_S6_PS1_21rocsparse_index_base_S8_S8_S8_bb.kd
    .uniform_work_group_size: 1
    .uses_dynamic_stack: false
    .vgpr_count:     16
    .vgpr_spill_count: 0
    .wavefront_size: 32
  - .args:
      - .offset:         0
        .size:           4
        .value_kind:     by_value
      - .actual_access:  read_only
        .address_space:  global
        .offset:         8
        .size:           8
        .value_kind:     global_buffer
      - .actual_access:  read_only
        .address_space:  global
        .offset:         16
        .size:           8
        .value_kind:     global_buffer
      - .actual_access:  read_only
        .address_space:  global
        .offset:         24
        .size:           8
        .value_kind:     global_buffer
      - .actual_access:  read_only
        .address_space:  global
        .offset:         32
        .size:           8
        .value_kind:     global_buffer
      - .actual_access:  read_only
        .address_space:  global
        .offset:         40
        .size:           8
        .value_kind:     global_buffer
      - .actual_access:  read_only
        .address_space:  global
        .offset:         48
        .size:           8
        .value_kind:     global_buffer
      - .actual_access:  read_only
        .address_space:  global
        .offset:         56
        .size:           8
        .value_kind:     global_buffer
      - .actual_access:  read_only
        .address_space:  global
        .offset:         64
        .size:           8
        .value_kind:     global_buffer
      - .actual_access:  read_only
        .address_space:  global
        .offset:         72
        .size:           8
        .value_kind:     global_buffer
      - .actual_access:  write_only
        .address_space:  global
        .offset:         80
        .size:           8
        .value_kind:     global_buffer
      - .offset:         88
        .size:           4
        .value_kind:     by_value
      - .offset:         92
        .size:           4
        .value_kind:     by_value
      - .offset:         96
        .size:           4
        .value_kind:     by_value
      - .offset:         100
        .size:           4
        .value_kind:     by_value
      - .offset:         104
        .size:           1
        .value_kind:     by_value
      - .offset:         105
        .size:           1
        .value_kind:     by_value
    .group_segment_fixed_size: 0
    .kernarg_segment_align: 8
    .kernarg_segment_size: 108
    .language:       OpenCL C
    .language_version:
      - 2
      - 0
    .max_flat_workgroup_size: 1024
    .name:           _ZN9rocsparseL35csrgemm_symbolic_fill_block_per_rowILj1024ELj64ELj16384ELj137ELj64EliEEvT5_PKS1_S3_PKT4_S3_S6_S3_S6_S3_S6_PS1_21rocsparse_index_base_S8_S8_S8_bb
    .private_segment_fixed_size: 0
    .sgpr_count:     44
    .sgpr_spill_count: 0
    .symbol:         _ZN9rocsparseL35csrgemm_symbolic_fill_block_per_rowILj1024ELj64ELj16384ELj137ELj64EliEEvT5_PKS1_S3_PKT4_S3_S6_S3_S6_S3_S6_PS1_21rocsparse_index_base_S8_S8_S8_bb.kd
    .uniform_work_group_size: 1
    .uses_dynamic_stack: false
    .vgpr_count:     18
    .vgpr_spill_count: 0
    .wavefront_size: 32
  - .args:
      - .offset:         0
        .size:           4
        .value_kind:     by_value
      - .actual_access:  read_only
        .address_space:  global
        .offset:         8
        .size:           8
        .value_kind:     global_buffer
      - .actual_access:  read_only
        .address_space:  global
        .offset:         16
        .size:           8
        .value_kind:     global_buffer
      - .actual_access:  read_only
        .address_space:  global
        .offset:         24
        .size:           8
        .value_kind:     global_buffer
      - .actual_access:  read_only
        .address_space:  global
        .offset:         32
        .size:           8
        .value_kind:     global_buffer
      - .actual_access:  read_only
        .address_space:  global
        .offset:         40
        .size:           8
        .value_kind:     global_buffer
      - .actual_access:  read_only
        .address_space:  global
        .offset:         48
        .size:           8
        .value_kind:     global_buffer
      - .actual_access:  read_only
        .address_space:  global
        .offset:         56
        .size:           8
        .value_kind:     global_buffer
      - .actual_access:  read_only
        .address_space:  global
        .offset:         64
        .size:           8
        .value_kind:     global_buffer
      - .actual_access:  read_only
        .address_space:  global
        .offset:         72
        .size:           8
        .value_kind:     global_buffer
      - .actual_access:  write_only
        .address_space:  global
        .offset:         80
        .size:           8
        .value_kind:     global_buffer
      - .offset:         88
        .size:           4
        .value_kind:     by_value
      - .offset:         92
        .size:           4
        .value_kind:     by_value
      - .offset:         96
        .size:           4
        .value_kind:     by_value
      - .offset:         100
        .size:           4
        .value_kind:     by_value
      - .offset:         104
        .size:           1
        .value_kind:     by_value
      - .offset:         105
        .size:           1
        .value_kind:     by_value
    .group_segment_fixed_size: 0
    .kernarg_segment_align: 8
    .kernarg_segment_size: 108
    .language:       OpenCL C
    .language_version:
      - 2
      - 0
    .max_flat_workgroup_size: 1024
    .name:           _ZN9rocsparseL35csrgemm_symbolic_fill_block_per_rowILj1024ELj64ELj32768ELj137ELj32EliEEvT5_PKS1_S3_PKT4_S3_S6_S3_S6_S3_S6_PS1_21rocsparse_index_base_S8_S8_S8_bb
    .private_segment_fixed_size: 0
    .sgpr_count:     76
    .sgpr_spill_count: 0
    .symbol:         _ZN9rocsparseL35csrgemm_symbolic_fill_block_per_rowILj1024ELj64ELj32768ELj137ELj32EliEEvT5_PKS1_S3_PKT4_S3_S6_S3_S6_S3_S6_PS1_21rocsparse_index_base_S8_S8_S8_bb.kd
    .uniform_work_group_size: 1
    .uses_dynamic_stack: false
    .vgpr_count:     16
    .vgpr_spill_count: 0
    .wavefront_size: 32
  - .args:
      - .offset:         0
        .size:           4
        .value_kind:     by_value
      - .actual_access:  read_only
        .address_space:  global
        .offset:         8
        .size:           8
        .value_kind:     global_buffer
      - .actual_access:  read_only
        .address_space:  global
        .offset:         16
        .size:           8
        .value_kind:     global_buffer
      - .actual_access:  read_only
        .address_space:  global
        .offset:         24
        .size:           8
        .value_kind:     global_buffer
      - .actual_access:  read_only
        .address_space:  global
        .offset:         32
        .size:           8
        .value_kind:     global_buffer
      - .actual_access:  read_only
        .address_space:  global
        .offset:         40
        .size:           8
        .value_kind:     global_buffer
      - .actual_access:  read_only
        .address_space:  global
        .offset:         48
        .size:           8
        .value_kind:     global_buffer
      - .actual_access:  read_only
        .address_space:  global
        .offset:         56
        .size:           8
        .value_kind:     global_buffer
      - .actual_access:  read_only
        .address_space:  global
        .offset:         64
        .size:           8
        .value_kind:     global_buffer
      - .actual_access:  read_only
        .address_space:  global
        .offset:         72
        .size:           8
        .value_kind:     global_buffer
      - .actual_access:  write_only
        .address_space:  global
        .offset:         80
        .size:           8
        .value_kind:     global_buffer
      - .offset:         88
        .size:           4
        .value_kind:     by_value
      - .offset:         92
        .size:           4
        .value_kind:     by_value
      - .offset:         96
        .size:           4
        .value_kind:     by_value
      - .offset:         100
        .size:           4
        .value_kind:     by_value
      - .offset:         104
        .size:           1
        .value_kind:     by_value
      - .offset:         105
        .size:           1
        .value_kind:     by_value
    .group_segment_fixed_size: 0
    .kernarg_segment_align: 8
    .kernarg_segment_size: 108
    .language:       OpenCL C
    .language_version:
      - 2
      - 0
    .max_flat_workgroup_size: 1024
    .name:           _ZN9rocsparseL35csrgemm_symbolic_fill_block_per_rowILj1024ELj64ELj32768ELj137ELj64EliEEvT5_PKS1_S3_PKT4_S3_S6_S3_S6_S3_S6_PS1_21rocsparse_index_base_S8_S8_S8_bb
    .private_segment_fixed_size: 0
    .sgpr_count:     44
    .sgpr_spill_count: 0
    .symbol:         _ZN9rocsparseL35csrgemm_symbolic_fill_block_per_rowILj1024ELj64ELj32768ELj137ELj64EliEEvT5_PKS1_S3_PKT4_S3_S6_S3_S6_S3_S6_PS1_21rocsparse_index_base_S8_S8_S8_bb.kd
    .uniform_work_group_size: 1
    .uses_dynamic_stack: false
    .vgpr_count:     18
    .vgpr_spill_count: 0
    .wavefront_size: 32
  - .args:
      - .offset:         0
        .size:           4
        .value_kind:     by_value
      - .actual_access:  read_only
        .address_space:  global
        .offset:         8
        .size:           8
        .value_kind:     global_buffer
      - .actual_access:  read_only
        .address_space:  global
        .offset:         16
        .size:           8
        .value_kind:     global_buffer
      - .actual_access:  read_only
        .address_space:  global
        .offset:         24
        .size:           8
        .value_kind:     global_buffer
      - .actual_access:  read_only
        .address_space:  global
        .offset:         32
        .size:           8
        .value_kind:     global_buffer
      - .actual_access:  read_only
        .address_space:  global
        .offset:         40
        .size:           8
        .value_kind:     global_buffer
      - .actual_access:  read_only
        .address_space:  global
        .offset:         48
        .size:           8
        .value_kind:     global_buffer
      - .actual_access:  read_only
        .address_space:  global
        .offset:         56
        .size:           8
        .value_kind:     global_buffer
      - .actual_access:  read_only
        .address_space:  global
        .offset:         64
        .size:           8
        .value_kind:     global_buffer
      - .actual_access:  read_only
        .address_space:  global
        .offset:         72
        .size:           8
        .value_kind:     global_buffer
      - .actual_access:  write_only
        .address_space:  global
        .offset:         80
        .size:           8
        .value_kind:     global_buffer
      - .address_space:  global
        .offset:         88
        .size:           8
        .value_kind:     global_buffer
      - .offset:         96
        .size:           4
        .value_kind:     by_value
      - .offset:         100
        .size:           4
        .value_kind:     by_value
      - .offset:         104
        .size:           4
        .value_kind:     by_value
      - .offset:         108
        .size:           4
        .value_kind:     by_value
      - .offset:         112
        .size:           1
        .value_kind:     by_value
      - .offset:         113
        .size:           1
        .value_kind:     by_value
    .group_segment_fixed_size: 10244
    .kernarg_segment_align: 8
    .kernarg_segment_size: 116
    .language:       OpenCL C
    .language_version:
      - 2
      - 0
    .max_flat_workgroup_size: 512
    .name:           _ZN9rocsparseL45csrgemm_symbolic_fill_block_per_row_multipassILj512ELj16ELj2048ELj32EliEEvT4_PKS1_S3_PKT3_S3_S6_S3_S6_S3_S6_PS1_PS4_21rocsparse_index_base_S9_S9_S9_bb
    .private_segment_fixed_size: 0
    .sgpr_count:     59
    .sgpr_spill_count: 0
    .symbol:         _ZN9rocsparseL45csrgemm_symbolic_fill_block_per_row_multipassILj512ELj16ELj2048ELj32EliEEvT4_PKS1_S3_PKT3_S3_S6_S3_S6_S3_S6_PS1_PS4_21rocsparse_index_base_S9_S9_S9_bb.kd
    .uniform_work_group_size: 1
    .uses_dynamic_stack: false
    .vgpr_count:     34
    .vgpr_spill_count: 0
    .wavefront_size: 32
  - .args:
      - .offset:         0
        .size:           4
        .value_kind:     by_value
      - .actual_access:  read_only
        .address_space:  global
        .offset:         8
        .size:           8
        .value_kind:     global_buffer
      - .actual_access:  read_only
        .address_space:  global
        .offset:         16
        .size:           8
        .value_kind:     global_buffer
      - .actual_access:  read_only
        .address_space:  global
        .offset:         24
        .size:           8
        .value_kind:     global_buffer
      - .actual_access:  read_only
        .address_space:  global
        .offset:         32
        .size:           8
        .value_kind:     global_buffer
      - .actual_access:  read_only
        .address_space:  global
        .offset:         40
        .size:           8
        .value_kind:     global_buffer
      - .actual_access:  read_only
        .address_space:  global
        .offset:         48
        .size:           8
        .value_kind:     global_buffer
      - .actual_access:  read_only
        .address_space:  global
        .offset:         56
        .size:           8
        .value_kind:     global_buffer
      - .actual_access:  read_only
        .address_space:  global
        .offset:         64
        .size:           8
        .value_kind:     global_buffer
      - .actual_access:  read_only
        .address_space:  global
        .offset:         72
        .size:           8
        .value_kind:     global_buffer
      - .actual_access:  write_only
        .address_space:  global
        .offset:         80
        .size:           8
        .value_kind:     global_buffer
      - .address_space:  global
        .offset:         88
        .size:           8
        .value_kind:     global_buffer
      - .offset:         96
        .size:           4
        .value_kind:     by_value
      - .offset:         100
        .size:           4
        .value_kind:     by_value
      - .offset:         104
        .size:           4
        .value_kind:     by_value
      - .offset:         108
        .size:           4
        .value_kind:     by_value
      - .offset:         112
        .size:           1
        .value_kind:     by_value
      - .offset:         113
        .size:           1
        .value_kind:     by_value
    .group_segment_fixed_size: 10244
    .kernarg_segment_align: 8
    .kernarg_segment_size: 116
    .language:       OpenCL C
    .language_version:
      - 2
      - 0
    .max_flat_workgroup_size: 512
    .name:           _ZN9rocsparseL45csrgemm_symbolic_fill_block_per_row_multipassILj512ELj16ELj2048ELj64EliEEvT4_PKS1_S3_PKT3_S3_S6_S3_S6_S3_S6_PS1_PS4_21rocsparse_index_base_S9_S9_S9_bb
    .private_segment_fixed_size: 0
    .sgpr_count:     51
    .sgpr_spill_count: 0
    .symbol:         _ZN9rocsparseL45csrgemm_symbolic_fill_block_per_row_multipassILj512ELj16ELj2048ELj64EliEEvT4_PKS1_S3_PKT3_S3_S6_S3_S6_S3_S6_PS1_PS4_21rocsparse_index_base_S9_S9_S9_bb.kd
    .uniform_work_group_size: 1
    .uses_dynamic_stack: false
    .vgpr_count:     34
    .vgpr_spill_count: 0
    .wavefront_size: 32
  - .args:
      - .offset:         0
        .size:           8
        .value_kind:     by_value
      - .actual_access:  read_only
        .address_space:  global
        .offset:         8
        .size:           8
        .value_kind:     global_buffer
      - .actual_access:  write_only
        .address_space:  global
        .offset:         16
        .size:           8
        .value_kind:     global_buffer
      - .offset:         24
        .size:           4
        .value_kind:     hidden_block_count_x
      - .offset:         28
        .size:           4
        .value_kind:     hidden_block_count_y
      - .offset:         32
        .size:           4
        .value_kind:     hidden_block_count_z
      - .offset:         36
        .size:           2
        .value_kind:     hidden_group_size_x
      - .offset:         38
        .size:           2
        .value_kind:     hidden_group_size_y
      - .offset:         40
        .size:           2
        .value_kind:     hidden_group_size_z
      - .offset:         42
        .size:           2
        .value_kind:     hidden_remainder_x
      - .offset:         44
        .size:           2
        .value_kind:     hidden_remainder_y
      - .offset:         46
        .size:           2
        .value_kind:     hidden_remainder_z
      - .offset:         64
        .size:           8
        .value_kind:     hidden_global_offset_x
      - .offset:         72
        .size:           8
        .value_kind:     hidden_global_offset_y
      - .offset:         80
        .size:           8
        .value_kind:     hidden_global_offset_z
      - .offset:         88
        .size:           2
        .value_kind:     hidden_grid_dims
    .group_segment_fixed_size: 2048
    .kernarg_segment_align: 8
    .kernarg_segment_size: 280
    .language:       OpenCL C
    .language_version:
      - 2
      - 0
    .max_flat_workgroup_size: 256
    .name:           _ZN9rocsparseL34csrgemm_symbolic_max_row_nnz_part1ILj256EllEEvT1_PKT0_PS1_
    .private_segment_fixed_size: 0
    .sgpr_count:     14
    .sgpr_spill_count: 0
    .symbol:         _ZN9rocsparseL34csrgemm_symbolic_max_row_nnz_part1ILj256EllEEvT1_PKT0_PS1_.kd
    .uniform_work_group_size: 1
    .uses_dynamic_stack: false
    .vgpr_count:     12
    .vgpr_spill_count: 0
    .wavefront_size: 32
  - .args:
      - .address_space:  global
        .offset:         0
        .size:           8
        .value_kind:     global_buffer
    .group_segment_fixed_size: 2048
    .kernarg_segment_align: 8
    .kernarg_segment_size: 8
    .language:       OpenCL C
    .language_version:
      - 2
      - 0
    .max_flat_workgroup_size: 256
    .name:           _ZN9rocsparseL34csrgemm_symbolic_max_row_nnz_part2ILj256ElEEvPT0_
    .private_segment_fixed_size: 0
    .sgpr_count:     5
    .sgpr_spill_count: 0
    .symbol:         _ZN9rocsparseL34csrgemm_symbolic_max_row_nnz_part2ILj256ElEEvPT0_.kd
    .uniform_work_group_size: 1
    .uses_dynamic_stack: false
    .vgpr_count:     6
    .vgpr_spill_count: 0
    .wavefront_size: 32
  - .args:
      - .offset:         0
        .size:           8
        .value_kind:     by_value
      - .actual_access:  read_only
        .address_space:  global
        .offset:         8
        .size:           8
        .value_kind:     global_buffer
      - .actual_access:  write_only
        .address_space:  global
        .offset:         16
        .size:           8
        .value_kind:     global_buffer
      - .actual_access:  write_only
        .address_space:  global
        .offset:         24
        .size:           8
        .value_kind:     global_buffer
      - .offset:         32
        .size:           4
        .value_kind:     by_value
      - .offset:         40
        .size:           4
        .value_kind:     hidden_block_count_x
      - .offset:         44
        .size:           4
        .value_kind:     hidden_block_count_y
      - .offset:         48
        .size:           4
        .value_kind:     hidden_block_count_z
      - .offset:         52
        .size:           2
        .value_kind:     hidden_group_size_x
      - .offset:         54
        .size:           2
        .value_kind:     hidden_group_size_y
      - .offset:         56
        .size:           2
        .value_kind:     hidden_group_size_z
      - .offset:         58
        .size:           2
        .value_kind:     hidden_remainder_x
      - .offset:         60
        .size:           2
        .value_kind:     hidden_remainder_y
      - .offset:         62
        .size:           2
        .value_kind:     hidden_remainder_z
      - .offset:         80
        .size:           8
        .value_kind:     hidden_global_offset_x
      - .offset:         88
        .size:           8
        .value_kind:     hidden_global_offset_y
      - .offset:         96
        .size:           8
        .value_kind:     hidden_global_offset_z
      - .offset:         104
        .size:           2
        .value_kind:     hidden_grid_dims
    .group_segment_fixed_size: 22528
    .kernarg_segment_align: 8
    .kernarg_segment_size: 296
    .language:       OpenCL C
    .language_version:
      - 2
      - 0
    .max_flat_workgroup_size: 256
    .name:           _ZN9rocsparseL35csrgemm_symbolic_group_reduce_part2ILj256ELj11EllEEvT2_PKT1_PS1_Pij
    .private_segment_fixed_size: 0
    .sgpr_count:     30
    .sgpr_spill_count: 0
    .symbol:         _ZN9rocsparseL35csrgemm_symbolic_group_reduce_part2ILj256ELj11EllEEvT2_PKT1_PS1_Pij.kd
    .uniform_work_group_size: 1
    .uses_dynamic_stack: false
    .vgpr_count:     46
    .vgpr_spill_count: 0
    .wavefront_size: 32
  - .args:
      - .address_space:  global
        .offset:         0
        .size:           8
        .value_kind:     global_buffer
    .group_segment_fixed_size: 22528
    .kernarg_segment_align: 8
    .kernarg_segment_size: 8
    .language:       OpenCL C
    .language_version:
      - 2
      - 0
    .max_flat_workgroup_size: 256
    .name:           _ZN9rocsparseL35csrgemm_symbolic_group_reduce_part3ILj256ELj11ElEEvPT1_
    .private_segment_fixed_size: 0
    .sgpr_count:     7
    .sgpr_spill_count: 0
    .symbol:         _ZN9rocsparseL35csrgemm_symbolic_group_reduce_part3ILj256ELj11ElEEvPT1_.kd
    .uniform_work_group_size: 1
    .uses_dynamic_stack: false
    .vgpr_count:     46
    .vgpr_spill_count: 0
    .wavefront_size: 32
  - .args:
      - .offset:         0
        .size:           8
        .value_kind:     by_value
      - .offset:         8
        .size:           8
        .value_kind:     by_value
      - .actual_access:  read_only
        .address_space:  global
        .offset:         16
        .size:           8
        .value_kind:     global_buffer
      - .actual_access:  read_only
        .address_space:  global
        .offset:         24
        .size:           8
        .value_kind:     global_buffer
      - .actual_access:  read_only
        .address_space:  global
        .offset:         32
        .size:           8
        .value_kind:     global_buffer
      - .actual_access:  read_only
        .address_space:  global
        .offset:         40
        .size:           8
        .value_kind:     global_buffer
      - .actual_access:  read_only
        .address_space:  global
        .offset:         48
        .size:           8
        .value_kind:     global_buffer
      - .actual_access:  read_only
        .address_space:  global
        .offset:         56
        .size:           8
        .value_kind:     global_buffer
      - .actual_access:  read_only
        .address_space:  global
        .offset:         64
        .size:           8
        .value_kind:     global_buffer
      - .actual_access:  read_only
        .address_space:  global
        .offset:         72
        .size:           8
        .value_kind:     global_buffer
      - .actual_access:  read_only
        .address_space:  global
        .offset:         80
        .size:           8
        .value_kind:     global_buffer
      - .actual_access:  write_only
        .address_space:  global
        .offset:         88
        .size:           8
        .value_kind:     global_buffer
      - .offset:         96
        .size:           4
        .value_kind:     by_value
      - .offset:         100
        .size:           4
        .value_kind:     by_value
      - .offset:         104
        .size:           4
        .value_kind:     by_value
      - .offset:         108
        .size:           4
        .value_kind:     by_value
      - .offset:         112
        .size:           1
        .value_kind:     by_value
      - .offset:         113
        .size:           1
        .value_kind:     by_value
    .group_segment_fixed_size: 4096
    .kernarg_segment_align: 8
    .kernarg_segment_size: 116
    .language:       OpenCL C
    .language_version:
      - 2
      - 0
    .max_flat_workgroup_size: 256
    .name:           _ZN9rocsparseL32csrgemm_symbolic_fill_wf_per_rowILj256ELj8ELj16ELj137EllEEvT4_S1_PKS1_S3_PKT3_S3_S6_S3_S6_S3_S6_PS1_21rocsparse_index_base_S8_S8_S8_bb
    .private_segment_fixed_size: 0
    .sgpr_count:     34
    .sgpr_spill_count: 0
    .symbol:         _ZN9rocsparseL32csrgemm_symbolic_fill_wf_per_rowILj256ELj8ELj16ELj137EllEEvT4_S1_PKS1_S3_PKT3_S3_S6_S3_S6_S3_S6_PS1_21rocsparse_index_base_S8_S8_S8_bb.kd
    .uniform_work_group_size: 1
    .uses_dynamic_stack: false
    .vgpr_count:     24
    .vgpr_spill_count: 0
    .wavefront_size: 32
  - .args:
      - .offset:         0
        .size:           8
        .value_kind:     by_value
      - .offset:         8
        .size:           8
        .value_kind:     by_value
      - .actual_access:  read_only
        .address_space:  global
        .offset:         16
        .size:           8
        .value_kind:     global_buffer
      - .actual_access:  read_only
        .address_space:  global
        .offset:         24
        .size:           8
        .value_kind:     global_buffer
      - .actual_access:  read_only
        .address_space:  global
        .offset:         32
        .size:           8
        .value_kind:     global_buffer
      - .actual_access:  read_only
        .address_space:  global
        .offset:         40
        .size:           8
        .value_kind:     global_buffer
      - .actual_access:  read_only
        .address_space:  global
        .offset:         48
        .size:           8
        .value_kind:     global_buffer
      - .actual_access:  read_only
        .address_space:  global
        .offset:         56
        .size:           8
        .value_kind:     global_buffer
      - .actual_access:  read_only
        .address_space:  global
        .offset:         64
        .size:           8
        .value_kind:     global_buffer
      - .actual_access:  read_only
        .address_space:  global
        .offset:         72
        .size:           8
        .value_kind:     global_buffer
      - .actual_access:  read_only
        .address_space:  global
        .offset:         80
        .size:           8
        .value_kind:     global_buffer
      - .actual_access:  write_only
        .address_space:  global
        .offset:         88
        .size:           8
        .value_kind:     global_buffer
      - .offset:         96
        .size:           4
        .value_kind:     by_value
      - .offset:         100
        .size:           4
        .value_kind:     by_value
      - .offset:         104
        .size:           4
        .value_kind:     by_value
      - .offset:         108
        .size:           4
        .value_kind:     by_value
      - .offset:         112
        .size:           1
        .value_kind:     by_value
      - .offset:         113
        .size:           1
        .value_kind:     by_value
    .group_segment_fixed_size: 4096
    .kernarg_segment_align: 8
    .kernarg_segment_size: 116
    .language:       OpenCL C
    .language_version:
      - 2
      - 0
    .max_flat_workgroup_size: 256
    .name:           _ZN9rocsparseL32csrgemm_symbolic_fill_wf_per_rowILj256ELj16ELj32ELj137EllEEvT4_S1_PKS1_S3_PKT3_S3_S6_S3_S6_S3_S6_PS1_21rocsparse_index_base_S8_S8_S8_bb
    .private_segment_fixed_size: 0
    .sgpr_count:     34
    .sgpr_spill_count: 0
    .symbol:         _ZN9rocsparseL32csrgemm_symbolic_fill_wf_per_rowILj256ELj16ELj32ELj137EllEEvT4_S1_PKS1_S3_PKT3_S3_S6_S3_S6_S3_S6_PS1_21rocsparse_index_base_S8_S8_S8_bb.kd
    .uniform_work_group_size: 1
    .uses_dynamic_stack: false
    .vgpr_count:     24
    .vgpr_spill_count: 0
    .wavefront_size: 32
  - .args:
      - .offset:         0
        .size:           8
        .value_kind:     by_value
      - .actual_access:  read_only
        .address_space:  global
        .offset:         8
        .size:           8
        .value_kind:     global_buffer
      - .actual_access:  read_only
        .address_space:  global
        .offset:         16
        .size:           8
        .value_kind:     global_buffer
      - .actual_access:  read_only
        .address_space:  global
        .offset:         24
        .size:           8
        .value_kind:     global_buffer
      - .actual_access:  read_only
        .address_space:  global
        .offset:         32
        .size:           8
        .value_kind:     global_buffer
      - .actual_access:  read_only
        .address_space:  global
        .offset:         40
        .size:           8
        .value_kind:     global_buffer
      - .actual_access:  read_only
        .address_space:  global
        .offset:         48
        .size:           8
        .value_kind:     global_buffer
      - .actual_access:  read_only
        .address_space:  global
        .offset:         56
        .size:           8
        .value_kind:     global_buffer
      - .actual_access:  read_only
        .address_space:  global
        .offset:         64
        .size:           8
        .value_kind:     global_buffer
      - .actual_access:  read_only
        .address_space:  global
        .offset:         72
        .size:           8
        .value_kind:     global_buffer
      - .actual_access:  write_only
        .address_space:  global
        .offset:         80
        .size:           8
        .value_kind:     global_buffer
      - .offset:         88
        .size:           4
        .value_kind:     by_value
      - .offset:         92
        .size:           4
        .value_kind:     by_value
      - .offset:         96
        .size:           4
        .value_kind:     by_value
      - .offset:         100
        .size:           4
        .value_kind:     by_value
      - .offset:         104
        .size:           1
        .value_kind:     by_value
      - .offset:         105
        .size:           1
        .value_kind:     by_value
    .group_segment_fixed_size: 0
    .kernarg_segment_align: 8
    .kernarg_segment_size: 108
    .language:       OpenCL C
    .language_version:
      - 2
      - 0
    .max_flat_workgroup_size: 128
    .name:           _ZN9rocsparseL35csrgemm_symbolic_fill_block_per_rowILj128ELj16ELj256ELj137ELj32EllEEvT5_PKS1_S3_PKT4_S3_S6_S3_S6_S3_S6_PS1_21rocsparse_index_base_S8_S8_S8_bb
    .private_segment_fixed_size: 0
    .sgpr_count:     42
    .sgpr_spill_count: 0
    .symbol:         _ZN9rocsparseL35csrgemm_symbolic_fill_block_per_rowILj128ELj16ELj256ELj137ELj32EllEEvT5_PKS1_S3_PKT4_S3_S6_S3_S6_S3_S6_PS1_21rocsparse_index_base_S8_S8_S8_bb.kd
    .uniform_work_group_size: 1
    .uses_dynamic_stack: false
    .vgpr_count:     19
    .vgpr_spill_count: 0
    .wavefront_size: 32
  - .args:
      - .offset:         0
        .size:           8
        .value_kind:     by_value
      - .actual_access:  read_only
        .address_space:  global
        .offset:         8
        .size:           8
        .value_kind:     global_buffer
      - .actual_access:  read_only
        .address_space:  global
        .offset:         16
        .size:           8
        .value_kind:     global_buffer
      - .actual_access:  read_only
        .address_space:  global
        .offset:         24
        .size:           8
        .value_kind:     global_buffer
      - .actual_access:  read_only
        .address_space:  global
        .offset:         32
        .size:           8
        .value_kind:     global_buffer
      - .actual_access:  read_only
        .address_space:  global
        .offset:         40
        .size:           8
        .value_kind:     global_buffer
      - .actual_access:  read_only
        .address_space:  global
        .offset:         48
        .size:           8
        .value_kind:     global_buffer
      - .actual_access:  read_only
        .address_space:  global
        .offset:         56
        .size:           8
        .value_kind:     global_buffer
      - .actual_access:  read_only
        .address_space:  global
        .offset:         64
        .size:           8
        .value_kind:     global_buffer
      - .actual_access:  read_only
        .address_space:  global
        .offset:         72
        .size:           8
        .value_kind:     global_buffer
      - .actual_access:  write_only
        .address_space:  global
        .offset:         80
        .size:           8
        .value_kind:     global_buffer
      - .offset:         88
        .size:           4
        .value_kind:     by_value
      - .offset:         92
        .size:           4
        .value_kind:     by_value
      - .offset:         96
        .size:           4
        .value_kind:     by_value
      - .offset:         100
        .size:           4
        .value_kind:     by_value
      - .offset:         104
        .size:           1
        .value_kind:     by_value
      - .offset:         105
        .size:           1
        .value_kind:     by_value
    .group_segment_fixed_size: 0
    .kernarg_segment_align: 8
    .kernarg_segment_size: 108
    .language:       OpenCL C
    .language_version:
      - 2
      - 0
    .max_flat_workgroup_size: 128
    .name:           _ZN9rocsparseL35csrgemm_symbolic_fill_block_per_rowILj128ELj16ELj256ELj137ELj64EllEEvT5_PKS1_S3_PKT4_S3_S6_S3_S6_S3_S6_PS1_21rocsparse_index_base_S8_S8_S8_bb
    .private_segment_fixed_size: 0
    .sgpr_count:     42
    .sgpr_spill_count: 0
    .symbol:         _ZN9rocsparseL35csrgemm_symbolic_fill_block_per_rowILj128ELj16ELj256ELj137ELj64EllEEvT5_PKS1_S3_PKT4_S3_S6_S3_S6_S3_S6_PS1_21rocsparse_index_base_S8_S8_S8_bb.kd
    .uniform_work_group_size: 1
    .uses_dynamic_stack: false
    .vgpr_count:     19
    .vgpr_spill_count: 0
    .wavefront_size: 32
  - .args:
      - .offset:         0
        .size:           8
        .value_kind:     by_value
      - .actual_access:  read_only
        .address_space:  global
        .offset:         8
        .size:           8
        .value_kind:     global_buffer
      - .actual_access:  read_only
        .address_space:  global
        .offset:         16
        .size:           8
        .value_kind:     global_buffer
      - .actual_access:  read_only
        .address_space:  global
        .offset:         24
        .size:           8
        .value_kind:     global_buffer
      - .actual_access:  read_only
        .address_space:  global
        .offset:         32
        .size:           8
        .value_kind:     global_buffer
      - .actual_access:  read_only
        .address_space:  global
        .offset:         40
        .size:           8
        .value_kind:     global_buffer
      - .actual_access:  read_only
        .address_space:  global
        .offset:         48
        .size:           8
        .value_kind:     global_buffer
      - .actual_access:  read_only
        .address_space:  global
        .offset:         56
        .size:           8
        .value_kind:     global_buffer
      - .actual_access:  read_only
        .address_space:  global
        .offset:         64
        .size:           8
        .value_kind:     global_buffer
      - .actual_access:  read_only
        .address_space:  global
        .offset:         72
        .size:           8
        .value_kind:     global_buffer
      - .actual_access:  write_only
        .address_space:  global
        .offset:         80
        .size:           8
        .value_kind:     global_buffer
      - .offset:         88
        .size:           4
        .value_kind:     by_value
      - .offset:         92
        .size:           4
        .value_kind:     by_value
      - .offset:         96
        .size:           4
        .value_kind:     by_value
      - .offset:         100
        .size:           4
        .value_kind:     by_value
      - .offset:         104
        .size:           1
        .value_kind:     by_value
      - .offset:         105
        .size:           1
        .value_kind:     by_value
    .group_segment_fixed_size: 0
    .kernarg_segment_align: 8
    .kernarg_segment_size: 108
    .language:       OpenCL C
    .language_version:
      - 2
      - 0
    .max_flat_workgroup_size: 256
    .name:           _ZN9rocsparseL35csrgemm_symbolic_fill_block_per_rowILj256ELj32ELj512ELj137ELj32EllEEvT5_PKS1_S3_PKT4_S3_S6_S3_S6_S3_S6_PS1_21rocsparse_index_base_S8_S8_S8_bb
    .private_segment_fixed_size: 0
    .sgpr_count:     42
    .sgpr_spill_count: 0
    .symbol:         _ZN9rocsparseL35csrgemm_symbolic_fill_block_per_rowILj256ELj32ELj512ELj137ELj32EllEEvT5_PKS1_S3_PKT4_S3_S6_S3_S6_S3_S6_PS1_21rocsparse_index_base_S8_S8_S8_bb.kd
    .uniform_work_group_size: 1
    .uses_dynamic_stack: false
    .vgpr_count:     19
    .vgpr_spill_count: 0
    .wavefront_size: 32
  - .args:
      - .offset:         0
        .size:           8
        .value_kind:     by_value
      - .actual_access:  read_only
        .address_space:  global
        .offset:         8
        .size:           8
        .value_kind:     global_buffer
      - .actual_access:  read_only
        .address_space:  global
        .offset:         16
        .size:           8
        .value_kind:     global_buffer
      - .actual_access:  read_only
        .address_space:  global
        .offset:         24
        .size:           8
        .value_kind:     global_buffer
      - .actual_access:  read_only
        .address_space:  global
        .offset:         32
        .size:           8
        .value_kind:     global_buffer
      - .actual_access:  read_only
        .address_space:  global
        .offset:         40
        .size:           8
        .value_kind:     global_buffer
      - .actual_access:  read_only
        .address_space:  global
        .offset:         48
        .size:           8
        .value_kind:     global_buffer
      - .actual_access:  read_only
        .address_space:  global
        .offset:         56
        .size:           8
        .value_kind:     global_buffer
      - .actual_access:  read_only
        .address_space:  global
        .offset:         64
        .size:           8
        .value_kind:     global_buffer
      - .actual_access:  read_only
        .address_space:  global
        .offset:         72
        .size:           8
        .value_kind:     global_buffer
      - .actual_access:  write_only
        .address_space:  global
        .offset:         80
        .size:           8
        .value_kind:     global_buffer
      - .offset:         88
        .size:           4
        .value_kind:     by_value
      - .offset:         92
        .size:           4
        .value_kind:     by_value
      - .offset:         96
        .size:           4
        .value_kind:     by_value
      - .offset:         100
        .size:           4
        .value_kind:     by_value
      - .offset:         104
        .size:           1
        .value_kind:     by_value
      - .offset:         105
        .size:           1
        .value_kind:     by_value
    .group_segment_fixed_size: 0
    .kernarg_segment_align: 8
    .kernarg_segment_size: 108
    .language:       OpenCL C
    .language_version:
      - 2
      - 0
    .max_flat_workgroup_size: 256
    .name:           _ZN9rocsparseL35csrgemm_symbolic_fill_block_per_rowILj256ELj32ELj512ELj137ELj64EllEEvT5_PKS1_S3_PKT4_S3_S6_S3_S6_S3_S6_PS1_21rocsparse_index_base_S8_S8_S8_bb
    .private_segment_fixed_size: 0
    .sgpr_count:     42
    .sgpr_spill_count: 0
    .symbol:         _ZN9rocsparseL35csrgemm_symbolic_fill_block_per_rowILj256ELj32ELj512ELj137ELj64EllEEvT5_PKS1_S3_PKT4_S3_S6_S3_S6_S3_S6_PS1_21rocsparse_index_base_S8_S8_S8_bb.kd
    .uniform_work_group_size: 1
    .uses_dynamic_stack: false
    .vgpr_count:     19
    .vgpr_spill_count: 0
    .wavefront_size: 32
  - .args:
      - .offset:         0
        .size:           8
        .value_kind:     by_value
      - .actual_access:  read_only
        .address_space:  global
        .offset:         8
        .size:           8
        .value_kind:     global_buffer
      - .actual_access:  read_only
        .address_space:  global
        .offset:         16
        .size:           8
        .value_kind:     global_buffer
      - .actual_access:  read_only
        .address_space:  global
        .offset:         24
        .size:           8
        .value_kind:     global_buffer
      - .actual_access:  read_only
        .address_space:  global
        .offset:         32
        .size:           8
        .value_kind:     global_buffer
      - .actual_access:  read_only
        .address_space:  global
        .offset:         40
        .size:           8
        .value_kind:     global_buffer
      - .actual_access:  read_only
        .address_space:  global
        .offset:         48
        .size:           8
        .value_kind:     global_buffer
      - .actual_access:  read_only
        .address_space:  global
        .offset:         56
        .size:           8
        .value_kind:     global_buffer
      - .actual_access:  read_only
        .address_space:  global
        .offset:         64
        .size:           8
        .value_kind:     global_buffer
      - .actual_access:  read_only
        .address_space:  global
        .offset:         72
        .size:           8
        .value_kind:     global_buffer
      - .actual_access:  write_only
        .address_space:  global
        .offset:         80
        .size:           8
        .value_kind:     global_buffer
      - .offset:         88
        .size:           4
        .value_kind:     by_value
      - .offset:         92
        .size:           4
        .value_kind:     by_value
      - .offset:         96
        .size:           4
        .value_kind:     by_value
      - .offset:         100
        .size:           4
        .value_kind:     by_value
      - .offset:         104
        .size:           1
        .value_kind:     by_value
      - .offset:         105
        .size:           1
        .value_kind:     by_value
    .group_segment_fixed_size: 0
    .kernarg_segment_align: 8
    .kernarg_segment_size: 108
    .language:       OpenCL C
    .language_version:
      - 2
      - 0
    .max_flat_workgroup_size: 512
    .name:           _ZN9rocsparseL35csrgemm_symbolic_fill_block_per_rowILj512ELj32ELj1024ELj137ELj32EllEEvT5_PKS1_S3_PKT4_S3_S6_S3_S6_S3_S6_PS1_21rocsparse_index_base_S8_S8_S8_bb
    .private_segment_fixed_size: 0
    .sgpr_count:     39
    .sgpr_spill_count: 0
    .symbol:         _ZN9rocsparseL35csrgemm_symbolic_fill_block_per_rowILj512ELj32ELj1024ELj137ELj32EllEEvT5_PKS1_S3_PKT4_S3_S6_S3_S6_S3_S6_PS1_21rocsparse_index_base_S8_S8_S8_bb.kd
    .uniform_work_group_size: 1
    .uses_dynamic_stack: false
    .vgpr_count:     19
    .vgpr_spill_count: 0
    .wavefront_size: 32
  - .args:
      - .offset:         0
        .size:           8
        .value_kind:     by_value
      - .actual_access:  read_only
        .address_space:  global
        .offset:         8
        .size:           8
        .value_kind:     global_buffer
      - .actual_access:  read_only
        .address_space:  global
        .offset:         16
        .size:           8
        .value_kind:     global_buffer
      - .actual_access:  read_only
        .address_space:  global
        .offset:         24
        .size:           8
        .value_kind:     global_buffer
      - .actual_access:  read_only
        .address_space:  global
        .offset:         32
        .size:           8
        .value_kind:     global_buffer
      - .actual_access:  read_only
        .address_space:  global
        .offset:         40
        .size:           8
        .value_kind:     global_buffer
      - .actual_access:  read_only
        .address_space:  global
        .offset:         48
        .size:           8
        .value_kind:     global_buffer
      - .actual_access:  read_only
        .address_space:  global
        .offset:         56
        .size:           8
        .value_kind:     global_buffer
      - .actual_access:  read_only
        .address_space:  global
        .offset:         64
        .size:           8
        .value_kind:     global_buffer
      - .actual_access:  read_only
        .address_space:  global
        .offset:         72
        .size:           8
        .value_kind:     global_buffer
      - .actual_access:  write_only
        .address_space:  global
        .offset:         80
        .size:           8
        .value_kind:     global_buffer
      - .offset:         88
        .size:           4
        .value_kind:     by_value
      - .offset:         92
        .size:           4
        .value_kind:     by_value
      - .offset:         96
        .size:           4
        .value_kind:     by_value
      - .offset:         100
        .size:           4
        .value_kind:     by_value
      - .offset:         104
        .size:           1
        .value_kind:     by_value
      - .offset:         105
        .size:           1
        .value_kind:     by_value
    .group_segment_fixed_size: 0
    .kernarg_segment_align: 8
    .kernarg_segment_size: 108
    .language:       OpenCL C
    .language_version:
      - 2
      - 0
    .max_flat_workgroup_size: 512
    .name:           _ZN9rocsparseL35csrgemm_symbolic_fill_block_per_rowILj512ELj32ELj1024ELj137ELj64EllEEvT5_PKS1_S3_PKT4_S3_S6_S3_S6_S3_S6_PS1_21rocsparse_index_base_S8_S8_S8_bb
    .private_segment_fixed_size: 0
    .sgpr_count:     39
    .sgpr_spill_count: 0
    .symbol:         _ZN9rocsparseL35csrgemm_symbolic_fill_block_per_rowILj512ELj32ELj1024ELj137ELj64EllEEvT5_PKS1_S3_PKT4_S3_S6_S3_S6_S3_S6_PS1_21rocsparse_index_base_S8_S8_S8_bb.kd
    .uniform_work_group_size: 1
    .uses_dynamic_stack: false
    .vgpr_count:     19
    .vgpr_spill_count: 0
    .wavefront_size: 32
  - .args:
      - .offset:         0
        .size:           8
        .value_kind:     by_value
      - .actual_access:  read_only
        .address_space:  global
        .offset:         8
        .size:           8
        .value_kind:     global_buffer
      - .actual_access:  read_only
        .address_space:  global
        .offset:         16
        .size:           8
        .value_kind:     global_buffer
      - .actual_access:  read_only
        .address_space:  global
        .offset:         24
        .size:           8
        .value_kind:     global_buffer
      - .actual_access:  read_only
        .address_space:  global
        .offset:         32
        .size:           8
        .value_kind:     global_buffer
      - .actual_access:  read_only
        .address_space:  global
        .offset:         40
        .size:           8
        .value_kind:     global_buffer
      - .actual_access:  read_only
        .address_space:  global
        .offset:         48
        .size:           8
        .value_kind:     global_buffer
      - .actual_access:  read_only
        .address_space:  global
        .offset:         56
        .size:           8
        .value_kind:     global_buffer
      - .actual_access:  read_only
        .address_space:  global
        .offset:         64
        .size:           8
        .value_kind:     global_buffer
      - .actual_access:  read_only
        .address_space:  global
        .offset:         72
        .size:           8
        .value_kind:     global_buffer
      - .actual_access:  write_only
        .address_space:  global
        .offset:         80
        .size:           8
        .value_kind:     global_buffer
      - .offset:         88
        .size:           4
        .value_kind:     by_value
      - .offset:         92
        .size:           4
        .value_kind:     by_value
      - .offset:         96
        .size:           4
        .value_kind:     by_value
      - .offset:         100
        .size:           4
        .value_kind:     by_value
      - .offset:         104
        .size:           1
        .value_kind:     by_value
      - .offset:         105
        .size:           1
        .value_kind:     by_value
    .group_segment_fixed_size: 0
    .kernarg_segment_align: 8
    .kernarg_segment_size: 108
    .language:       OpenCL C
    .language_version:
      - 2
      - 0
    .max_flat_workgroup_size: 1024
    .name:           _ZN9rocsparseL35csrgemm_symbolic_fill_block_per_rowILj1024ELj32ELj2048ELj137ELj32EllEEvT5_PKS1_S3_PKT4_S3_S6_S3_S6_S3_S6_PS1_21rocsparse_index_base_S8_S8_S8_bb
    .private_segment_fixed_size: 0
    .sgpr_count:     54
    .sgpr_spill_count: 0
    .symbol:         _ZN9rocsparseL35csrgemm_symbolic_fill_block_per_rowILj1024ELj32ELj2048ELj137ELj32EllEEvT5_PKS1_S3_PKT4_S3_S6_S3_S6_S3_S6_PS1_21rocsparse_index_base_S8_S8_S8_bb.kd
    .uniform_work_group_size: 1
    .uses_dynamic_stack: false
    .vgpr_count:     19
    .vgpr_spill_count: 0
    .wavefront_size: 32
  - .args:
      - .offset:         0
        .size:           8
        .value_kind:     by_value
      - .actual_access:  read_only
        .address_space:  global
        .offset:         8
        .size:           8
        .value_kind:     global_buffer
      - .actual_access:  read_only
        .address_space:  global
        .offset:         16
        .size:           8
        .value_kind:     global_buffer
      - .actual_access:  read_only
        .address_space:  global
        .offset:         24
        .size:           8
        .value_kind:     global_buffer
      - .actual_access:  read_only
        .address_space:  global
        .offset:         32
        .size:           8
        .value_kind:     global_buffer
      - .actual_access:  read_only
        .address_space:  global
        .offset:         40
        .size:           8
        .value_kind:     global_buffer
      - .actual_access:  read_only
        .address_space:  global
        .offset:         48
        .size:           8
        .value_kind:     global_buffer
      - .actual_access:  read_only
        .address_space:  global
        .offset:         56
        .size:           8
        .value_kind:     global_buffer
      - .actual_access:  read_only
        .address_space:  global
        .offset:         64
        .size:           8
        .value_kind:     global_buffer
      - .actual_access:  read_only
        .address_space:  global
        .offset:         72
        .size:           8
        .value_kind:     global_buffer
      - .actual_access:  write_only
        .address_space:  global
        .offset:         80
        .size:           8
        .value_kind:     global_buffer
      - .offset:         88
        .size:           4
        .value_kind:     by_value
      - .offset:         92
        .size:           4
        .value_kind:     by_value
      - .offset:         96
        .size:           4
        .value_kind:     by_value
      - .offset:         100
        .size:           4
        .value_kind:     by_value
      - .offset:         104
        .size:           1
        .value_kind:     by_value
      - .offset:         105
        .size:           1
        .value_kind:     by_value
    .group_segment_fixed_size: 0
    .kernarg_segment_align: 8
    .kernarg_segment_size: 108
    .language:       OpenCL C
    .language_version:
      - 2
      - 0
    .max_flat_workgroup_size: 1024
    .name:           _ZN9rocsparseL35csrgemm_symbolic_fill_block_per_rowILj1024ELj32ELj2048ELj137ELj64EllEEvT5_PKS1_S3_PKT4_S3_S6_S3_S6_S3_S6_PS1_21rocsparse_index_base_S8_S8_S8_bb
    .private_segment_fixed_size: 0
    .sgpr_count:     39
    .sgpr_spill_count: 0
    .symbol:         _ZN9rocsparseL35csrgemm_symbolic_fill_block_per_rowILj1024ELj32ELj2048ELj137ELj64EllEEvT5_PKS1_S3_PKT4_S3_S6_S3_S6_S3_S6_PS1_21rocsparse_index_base_S8_S8_S8_bb.kd
    .uniform_work_group_size: 1
    .uses_dynamic_stack: false
    .vgpr_count:     19
    .vgpr_spill_count: 0
    .wavefront_size: 32
  - .args:
      - .offset:         0
        .size:           8
        .value_kind:     by_value
      - .actual_access:  read_only
        .address_space:  global
        .offset:         8
        .size:           8
        .value_kind:     global_buffer
      - .actual_access:  read_only
        .address_space:  global
        .offset:         16
        .size:           8
        .value_kind:     global_buffer
      - .actual_access:  read_only
        .address_space:  global
        .offset:         24
        .size:           8
        .value_kind:     global_buffer
      - .actual_access:  read_only
        .address_space:  global
        .offset:         32
        .size:           8
        .value_kind:     global_buffer
      - .actual_access:  read_only
        .address_space:  global
        .offset:         40
        .size:           8
        .value_kind:     global_buffer
      - .actual_access:  read_only
        .address_space:  global
        .offset:         48
        .size:           8
        .value_kind:     global_buffer
      - .actual_access:  read_only
        .address_space:  global
        .offset:         56
        .size:           8
        .value_kind:     global_buffer
      - .actual_access:  read_only
        .address_space:  global
        .offset:         64
        .size:           8
        .value_kind:     global_buffer
      - .actual_access:  read_only
        .address_space:  global
        .offset:         72
        .size:           8
        .value_kind:     global_buffer
      - .actual_access:  write_only
        .address_space:  global
        .offset:         80
        .size:           8
        .value_kind:     global_buffer
      - .offset:         88
        .size:           4
        .value_kind:     by_value
      - .offset:         92
        .size:           4
        .value_kind:     by_value
      - .offset:         96
        .size:           4
        .value_kind:     by_value
      - .offset:         100
        .size:           4
        .value_kind:     by_value
      - .offset:         104
        .size:           1
        .value_kind:     by_value
      - .offset:         105
        .size:           1
        .value_kind:     by_value
    .group_segment_fixed_size: 0
    .kernarg_segment_align: 8
    .kernarg_segment_size: 108
    .language:       OpenCL C
    .language_version:
      - 2
      - 0
    .max_flat_workgroup_size: 1024
    .name:           _ZN9rocsparseL35csrgemm_symbolic_fill_block_per_rowILj1024ELj64ELj4096ELj137ELj32EllEEvT5_PKS1_S3_PKT4_S3_S6_S3_S6_S3_S6_PS1_21rocsparse_index_base_S8_S8_S8_bb
    .private_segment_fixed_size: 0
    .sgpr_count:     54
    .sgpr_spill_count: 0
    .symbol:         _ZN9rocsparseL35csrgemm_symbolic_fill_block_per_rowILj1024ELj64ELj4096ELj137ELj32EllEEvT5_PKS1_S3_PKT4_S3_S6_S3_S6_S3_S6_PS1_21rocsparse_index_base_S8_S8_S8_bb.kd
    .uniform_work_group_size: 1
    .uses_dynamic_stack: false
    .vgpr_count:     19
    .vgpr_spill_count: 0
    .wavefront_size: 32
  - .args:
      - .offset:         0
        .size:           8
        .value_kind:     by_value
      - .actual_access:  read_only
        .address_space:  global
        .offset:         8
        .size:           8
        .value_kind:     global_buffer
      - .actual_access:  read_only
        .address_space:  global
        .offset:         16
        .size:           8
        .value_kind:     global_buffer
      - .actual_access:  read_only
        .address_space:  global
        .offset:         24
        .size:           8
        .value_kind:     global_buffer
      - .actual_access:  read_only
        .address_space:  global
        .offset:         32
        .size:           8
        .value_kind:     global_buffer
      - .actual_access:  read_only
        .address_space:  global
        .offset:         40
        .size:           8
        .value_kind:     global_buffer
      - .actual_access:  read_only
        .address_space:  global
        .offset:         48
        .size:           8
        .value_kind:     global_buffer
      - .actual_access:  read_only
        .address_space:  global
        .offset:         56
        .size:           8
        .value_kind:     global_buffer
      - .actual_access:  read_only
        .address_space:  global
        .offset:         64
        .size:           8
        .value_kind:     global_buffer
      - .actual_access:  read_only
        .address_space:  global
        .offset:         72
        .size:           8
        .value_kind:     global_buffer
      - .actual_access:  write_only
        .address_space:  global
        .offset:         80
        .size:           8
        .value_kind:     global_buffer
      - .offset:         88
        .size:           4
        .value_kind:     by_value
      - .offset:         92
        .size:           4
        .value_kind:     by_value
      - .offset:         96
        .size:           4
        .value_kind:     by_value
      - .offset:         100
        .size:           4
        .value_kind:     by_value
      - .offset:         104
        .size:           1
        .value_kind:     by_value
      - .offset:         105
        .size:           1
        .value_kind:     by_value
    .group_segment_fixed_size: 0
    .kernarg_segment_align: 8
    .kernarg_segment_size: 108
    .language:       OpenCL C
    .language_version:
      - 2
      - 0
    .max_flat_workgroup_size: 1024
    .name:           _ZN9rocsparseL35csrgemm_symbolic_fill_block_per_rowILj1024ELj64ELj4096ELj137ELj64EllEEvT5_PKS1_S3_PKT4_S3_S6_S3_S6_S3_S6_PS1_21rocsparse_index_base_S8_S8_S8_bb
    .private_segment_fixed_size: 0
    .sgpr_count:     39
    .sgpr_spill_count: 0
    .symbol:         _ZN9rocsparseL35csrgemm_symbolic_fill_block_per_rowILj1024ELj64ELj4096ELj137ELj64EllEEvT5_PKS1_S3_PKT4_S3_S6_S3_S6_S3_S6_PS1_21rocsparse_index_base_S8_S8_S8_bb.kd
    .uniform_work_group_size: 1
    .uses_dynamic_stack: false
    .vgpr_count:     19
    .vgpr_spill_count: 0
    .wavefront_size: 32
  - .args:
      - .offset:         0
        .size:           8
        .value_kind:     by_value
      - .actual_access:  read_only
        .address_space:  global
        .offset:         8
        .size:           8
        .value_kind:     global_buffer
      - .actual_access:  read_only
        .address_space:  global
        .offset:         16
        .size:           8
        .value_kind:     global_buffer
      - .actual_access:  read_only
        .address_space:  global
        .offset:         24
        .size:           8
        .value_kind:     global_buffer
      - .actual_access:  read_only
        .address_space:  global
        .offset:         32
        .size:           8
        .value_kind:     global_buffer
      - .actual_access:  read_only
        .address_space:  global
        .offset:         40
        .size:           8
        .value_kind:     global_buffer
      - .actual_access:  read_only
        .address_space:  global
        .offset:         48
        .size:           8
        .value_kind:     global_buffer
      - .actual_access:  read_only
        .address_space:  global
        .offset:         56
        .size:           8
        .value_kind:     global_buffer
      - .actual_access:  read_only
        .address_space:  global
        .offset:         64
        .size:           8
        .value_kind:     global_buffer
      - .actual_access:  read_only
        .address_space:  global
        .offset:         72
        .size:           8
        .value_kind:     global_buffer
      - .actual_access:  write_only
        .address_space:  global
        .offset:         80
        .size:           8
        .value_kind:     global_buffer
      - .offset:         88
        .size:           4
        .value_kind:     by_value
      - .offset:         92
        .size:           4
        .value_kind:     by_value
      - .offset:         96
        .size:           4
        .value_kind:     by_value
      - .offset:         100
        .size:           4
        .value_kind:     by_value
      - .offset:         104
        .size:           1
        .value_kind:     by_value
      - .offset:         105
        .size:           1
        .value_kind:     by_value
    .group_segment_fixed_size: 0
    .kernarg_segment_align: 8
    .kernarg_segment_size: 108
    .language:       OpenCL C
    .language_version:
      - 2
      - 0
    .max_flat_workgroup_size: 1024
    .name:           _ZN9rocsparseL35csrgemm_symbolic_fill_block_per_rowILj1024ELj64ELj8192ELj137ELj32EllEEvT5_PKS1_S3_PKT4_S3_S6_S3_S6_S3_S6_PS1_21rocsparse_index_base_S8_S8_S8_bb
    .private_segment_fixed_size: 0
    .sgpr_count:     78
    .sgpr_spill_count: 0
    .symbol:         _ZN9rocsparseL35csrgemm_symbolic_fill_block_per_rowILj1024ELj64ELj8192ELj137ELj32EllEEvT5_PKS1_S3_PKT4_S3_S6_S3_S6_S3_S6_PS1_21rocsparse_index_base_S8_S8_S8_bb.kd
    .uniform_work_group_size: 1
    .uses_dynamic_stack: false
    .vgpr_count:     20
    .vgpr_spill_count: 0
    .wavefront_size: 32
  - .args:
      - .offset:         0
        .size:           8
        .value_kind:     by_value
      - .actual_access:  read_only
        .address_space:  global
        .offset:         8
        .size:           8
        .value_kind:     global_buffer
      - .actual_access:  read_only
        .address_space:  global
        .offset:         16
        .size:           8
        .value_kind:     global_buffer
      - .actual_access:  read_only
        .address_space:  global
        .offset:         24
        .size:           8
        .value_kind:     global_buffer
      - .actual_access:  read_only
        .address_space:  global
        .offset:         32
        .size:           8
        .value_kind:     global_buffer
      - .actual_access:  read_only
        .address_space:  global
        .offset:         40
        .size:           8
        .value_kind:     global_buffer
      - .actual_access:  read_only
        .address_space:  global
        .offset:         48
        .size:           8
        .value_kind:     global_buffer
      - .actual_access:  read_only
        .address_space:  global
        .offset:         56
        .size:           8
        .value_kind:     global_buffer
      - .actual_access:  read_only
        .address_space:  global
        .offset:         64
        .size:           8
        .value_kind:     global_buffer
      - .actual_access:  read_only
        .address_space:  global
        .offset:         72
        .size:           8
        .value_kind:     global_buffer
      - .actual_access:  write_only
        .address_space:  global
        .offset:         80
        .size:           8
        .value_kind:     global_buffer
      - .offset:         88
        .size:           4
        .value_kind:     by_value
      - .offset:         92
        .size:           4
        .value_kind:     by_value
      - .offset:         96
        .size:           4
        .value_kind:     by_value
      - .offset:         100
        .size:           4
        .value_kind:     by_value
      - .offset:         104
        .size:           1
        .value_kind:     by_value
      - .offset:         105
        .size:           1
        .value_kind:     by_value
    .group_segment_fixed_size: 0
    .kernarg_segment_align: 8
    .kernarg_segment_size: 108
    .language:       OpenCL C
    .language_version:
      - 2
      - 0
    .max_flat_workgroup_size: 1024
    .name:           _ZN9rocsparseL35csrgemm_symbolic_fill_block_per_rowILj1024ELj64ELj8192ELj137ELj64EllEEvT5_PKS1_S3_PKT4_S3_S6_S3_S6_S3_S6_PS1_21rocsparse_index_base_S8_S8_S8_bb
    .private_segment_fixed_size: 0
    .sgpr_count:     46
    .sgpr_spill_count: 0
    .symbol:         _ZN9rocsparseL35csrgemm_symbolic_fill_block_per_rowILj1024ELj64ELj8192ELj137ELj64EllEEvT5_PKS1_S3_PKT4_S3_S6_S3_S6_S3_S6_PS1_21rocsparse_index_base_S8_S8_S8_bb.kd
    .uniform_work_group_size: 1
    .uses_dynamic_stack: false
    .vgpr_count:     20
    .vgpr_spill_count: 0
    .wavefront_size: 32
  - .args:
      - .offset:         0
        .size:           8
        .value_kind:     by_value
      - .actual_access:  read_only
        .address_space:  global
        .offset:         8
        .size:           8
        .value_kind:     global_buffer
      - .actual_access:  read_only
        .address_space:  global
        .offset:         16
        .size:           8
        .value_kind:     global_buffer
      - .actual_access:  read_only
        .address_space:  global
        .offset:         24
        .size:           8
        .value_kind:     global_buffer
      - .actual_access:  read_only
        .address_space:  global
        .offset:         32
        .size:           8
        .value_kind:     global_buffer
      - .actual_access:  read_only
        .address_space:  global
        .offset:         40
        .size:           8
        .value_kind:     global_buffer
      - .actual_access:  read_only
        .address_space:  global
        .offset:         48
        .size:           8
        .value_kind:     global_buffer
      - .actual_access:  read_only
        .address_space:  global
        .offset:         56
        .size:           8
        .value_kind:     global_buffer
      - .actual_access:  read_only
        .address_space:  global
        .offset:         64
        .size:           8
        .value_kind:     global_buffer
      - .actual_access:  read_only
        .address_space:  global
        .offset:         72
        .size:           8
        .value_kind:     global_buffer
      - .actual_access:  write_only
        .address_space:  global
        .offset:         80
        .size:           8
        .value_kind:     global_buffer
      - .offset:         88
        .size:           4
        .value_kind:     by_value
      - .offset:         92
        .size:           4
        .value_kind:     by_value
      - .offset:         96
        .size:           4
        .value_kind:     by_value
      - .offset:         100
        .size:           4
        .value_kind:     by_value
      - .offset:         104
        .size:           1
        .value_kind:     by_value
      - .offset:         105
        .size:           1
        .value_kind:     by_value
    .group_segment_fixed_size: 0
    .kernarg_segment_align: 8
    .kernarg_segment_size: 108
    .language:       OpenCL C
    .language_version:
      - 2
      - 0
    .max_flat_workgroup_size: 1024
    .name:           _ZN9rocsparseL35csrgemm_symbolic_fill_block_per_rowILj1024ELj64ELj16384ELj137ELj32EllEEvT5_PKS1_S3_PKT4_S3_S6_S3_S6_S3_S6_PS1_21rocsparse_index_base_S8_S8_S8_bb
    .private_segment_fixed_size: 0
    .sgpr_count:     78
    .sgpr_spill_count: 0
    .symbol:         _ZN9rocsparseL35csrgemm_symbolic_fill_block_per_rowILj1024ELj64ELj16384ELj137ELj32EllEEvT5_PKS1_S3_PKT4_S3_S6_S3_S6_S3_S6_PS1_21rocsparse_index_base_S8_S8_S8_bb.kd
    .uniform_work_group_size: 1
    .uses_dynamic_stack: false
    .vgpr_count:     19
    .vgpr_spill_count: 0
    .wavefront_size: 32
  - .args:
      - .offset:         0
        .size:           8
        .value_kind:     by_value
      - .actual_access:  read_only
        .address_space:  global
        .offset:         8
        .size:           8
        .value_kind:     global_buffer
      - .actual_access:  read_only
        .address_space:  global
        .offset:         16
        .size:           8
        .value_kind:     global_buffer
      - .actual_access:  read_only
        .address_space:  global
        .offset:         24
        .size:           8
        .value_kind:     global_buffer
      - .actual_access:  read_only
        .address_space:  global
        .offset:         32
        .size:           8
        .value_kind:     global_buffer
      - .actual_access:  read_only
        .address_space:  global
        .offset:         40
        .size:           8
        .value_kind:     global_buffer
      - .actual_access:  read_only
        .address_space:  global
        .offset:         48
        .size:           8
        .value_kind:     global_buffer
      - .actual_access:  read_only
        .address_space:  global
        .offset:         56
        .size:           8
        .value_kind:     global_buffer
      - .actual_access:  read_only
        .address_space:  global
        .offset:         64
        .size:           8
        .value_kind:     global_buffer
      - .actual_access:  read_only
        .address_space:  global
        .offset:         72
        .size:           8
        .value_kind:     global_buffer
      - .actual_access:  write_only
        .address_space:  global
        .offset:         80
        .size:           8
        .value_kind:     global_buffer
      - .offset:         88
        .size:           4
        .value_kind:     by_value
      - .offset:         92
        .size:           4
        .value_kind:     by_value
      - .offset:         96
        .size:           4
        .value_kind:     by_value
      - .offset:         100
        .size:           4
        .value_kind:     by_value
      - .offset:         104
        .size:           1
        .value_kind:     by_value
      - .offset:         105
        .size:           1
        .value_kind:     by_value
    .group_segment_fixed_size: 0
    .kernarg_segment_align: 8
    .kernarg_segment_size: 108
    .language:       OpenCL C
    .language_version:
      - 2
      - 0
    .max_flat_workgroup_size: 1024
    .name:           _ZN9rocsparseL35csrgemm_symbolic_fill_block_per_rowILj1024ELj64ELj16384ELj137ELj64EllEEvT5_PKS1_S3_PKT4_S3_S6_S3_S6_S3_S6_PS1_21rocsparse_index_base_S8_S8_S8_bb
    .private_segment_fixed_size: 0
    .sgpr_count:     46
    .sgpr_spill_count: 0
    .symbol:         _ZN9rocsparseL35csrgemm_symbolic_fill_block_per_rowILj1024ELj64ELj16384ELj137ELj64EllEEvT5_PKS1_S3_PKT4_S3_S6_S3_S6_S3_S6_PS1_21rocsparse_index_base_S8_S8_S8_bb.kd
    .uniform_work_group_size: 1
    .uses_dynamic_stack: false
    .vgpr_count:     19
    .vgpr_spill_count: 0
    .wavefront_size: 32
  - .args:
      - .offset:         0
        .size:           8
        .value_kind:     by_value
      - .actual_access:  read_only
        .address_space:  global
        .offset:         8
        .size:           8
        .value_kind:     global_buffer
      - .actual_access:  read_only
        .address_space:  global
        .offset:         16
        .size:           8
        .value_kind:     global_buffer
      - .actual_access:  read_only
        .address_space:  global
        .offset:         24
        .size:           8
        .value_kind:     global_buffer
      - .actual_access:  read_only
        .address_space:  global
        .offset:         32
        .size:           8
        .value_kind:     global_buffer
      - .actual_access:  read_only
        .address_space:  global
        .offset:         40
        .size:           8
        .value_kind:     global_buffer
      - .actual_access:  read_only
        .address_space:  global
        .offset:         48
        .size:           8
        .value_kind:     global_buffer
      - .actual_access:  read_only
        .address_space:  global
        .offset:         56
        .size:           8
        .value_kind:     global_buffer
      - .actual_access:  read_only
        .address_space:  global
        .offset:         64
        .size:           8
        .value_kind:     global_buffer
      - .actual_access:  read_only
        .address_space:  global
        .offset:         72
        .size:           8
        .value_kind:     global_buffer
      - .actual_access:  write_only
        .address_space:  global
        .offset:         80
        .size:           8
        .value_kind:     global_buffer
      - .offset:         88
        .size:           4
        .value_kind:     by_value
      - .offset:         92
        .size:           4
        .value_kind:     by_value
      - .offset:         96
        .size:           4
        .value_kind:     by_value
      - .offset:         100
        .size:           4
        .value_kind:     by_value
      - .offset:         104
        .size:           1
        .value_kind:     by_value
      - .offset:         105
        .size:           1
        .value_kind:     by_value
    .group_segment_fixed_size: 0
    .kernarg_segment_align: 8
    .kernarg_segment_size: 108
    .language:       OpenCL C
    .language_version:
      - 2
      - 0
    .max_flat_workgroup_size: 1024
    .name:           _ZN9rocsparseL35csrgemm_symbolic_fill_block_per_rowILj1024ELj64ELj32768ELj137ELj32EllEEvT5_PKS1_S3_PKT4_S3_S6_S3_S6_S3_S6_PS1_21rocsparse_index_base_S8_S8_S8_bb
    .private_segment_fixed_size: 0
    .sgpr_count:     78
    .sgpr_spill_count: 0
    .symbol:         _ZN9rocsparseL35csrgemm_symbolic_fill_block_per_rowILj1024ELj64ELj32768ELj137ELj32EllEEvT5_PKS1_S3_PKT4_S3_S6_S3_S6_S3_S6_PS1_21rocsparse_index_base_S8_S8_S8_bb.kd
    .uniform_work_group_size: 1
    .uses_dynamic_stack: false
    .vgpr_count:     19
    .vgpr_spill_count: 0
    .wavefront_size: 32
  - .args:
      - .offset:         0
        .size:           8
        .value_kind:     by_value
      - .actual_access:  read_only
        .address_space:  global
        .offset:         8
        .size:           8
        .value_kind:     global_buffer
      - .actual_access:  read_only
        .address_space:  global
        .offset:         16
        .size:           8
        .value_kind:     global_buffer
      - .actual_access:  read_only
        .address_space:  global
        .offset:         24
        .size:           8
        .value_kind:     global_buffer
      - .actual_access:  read_only
        .address_space:  global
        .offset:         32
        .size:           8
        .value_kind:     global_buffer
      - .actual_access:  read_only
        .address_space:  global
        .offset:         40
        .size:           8
        .value_kind:     global_buffer
      - .actual_access:  read_only
        .address_space:  global
        .offset:         48
        .size:           8
        .value_kind:     global_buffer
      - .actual_access:  read_only
        .address_space:  global
        .offset:         56
        .size:           8
        .value_kind:     global_buffer
      - .actual_access:  read_only
        .address_space:  global
        .offset:         64
        .size:           8
        .value_kind:     global_buffer
      - .actual_access:  read_only
        .address_space:  global
        .offset:         72
        .size:           8
        .value_kind:     global_buffer
      - .actual_access:  write_only
        .address_space:  global
        .offset:         80
        .size:           8
        .value_kind:     global_buffer
      - .offset:         88
        .size:           4
        .value_kind:     by_value
      - .offset:         92
        .size:           4
        .value_kind:     by_value
      - .offset:         96
        .size:           4
        .value_kind:     by_value
      - .offset:         100
        .size:           4
        .value_kind:     by_value
      - .offset:         104
        .size:           1
        .value_kind:     by_value
      - .offset:         105
        .size:           1
        .value_kind:     by_value
    .group_segment_fixed_size: 0
    .kernarg_segment_align: 8
    .kernarg_segment_size: 108
    .language:       OpenCL C
    .language_version:
      - 2
      - 0
    .max_flat_workgroup_size: 1024
    .name:           _ZN9rocsparseL35csrgemm_symbolic_fill_block_per_rowILj1024ELj64ELj32768ELj137ELj64EllEEvT5_PKS1_S3_PKT4_S3_S6_S3_S6_S3_S6_PS1_21rocsparse_index_base_S8_S8_S8_bb
    .private_segment_fixed_size: 0
    .sgpr_count:     46
    .sgpr_spill_count: 0
    .symbol:         _ZN9rocsparseL35csrgemm_symbolic_fill_block_per_rowILj1024ELj64ELj32768ELj137ELj64EllEEvT5_PKS1_S3_PKT4_S3_S6_S3_S6_S3_S6_PS1_21rocsparse_index_base_S8_S8_S8_bb.kd
    .uniform_work_group_size: 1
    .uses_dynamic_stack: false
    .vgpr_count:     19
    .vgpr_spill_count: 0
    .wavefront_size: 32
  - .args:
      - .offset:         0
        .size:           8
        .value_kind:     by_value
      - .actual_access:  read_only
        .address_space:  global
        .offset:         8
        .size:           8
        .value_kind:     global_buffer
      - .actual_access:  read_only
        .address_space:  global
        .offset:         16
        .size:           8
        .value_kind:     global_buffer
      - .actual_access:  read_only
        .address_space:  global
        .offset:         24
        .size:           8
        .value_kind:     global_buffer
      - .actual_access:  read_only
        .address_space:  global
        .offset:         32
        .size:           8
        .value_kind:     global_buffer
      - .actual_access:  read_only
        .address_space:  global
        .offset:         40
        .size:           8
        .value_kind:     global_buffer
      - .actual_access:  read_only
        .address_space:  global
        .offset:         48
        .size:           8
        .value_kind:     global_buffer
      - .actual_access:  read_only
        .address_space:  global
        .offset:         56
        .size:           8
        .value_kind:     global_buffer
      - .actual_access:  read_only
        .address_space:  global
        .offset:         64
        .size:           8
        .value_kind:     global_buffer
      - .actual_access:  read_only
        .address_space:  global
        .offset:         72
        .size:           8
        .value_kind:     global_buffer
      - .actual_access:  write_only
        .address_space:  global
        .offset:         80
        .size:           8
        .value_kind:     global_buffer
      - .address_space:  global
        .offset:         88
        .size:           8
        .value_kind:     global_buffer
      - .offset:         96
        .size:           4
        .value_kind:     by_value
      - .offset:         100
        .size:           4
        .value_kind:     by_value
      - .offset:         104
        .size:           4
        .value_kind:     by_value
      - .offset:         108
        .size:           4
        .value_kind:     by_value
      - .offset:         112
        .size:           1
        .value_kind:     by_value
      - .offset:         113
        .size:           1
        .value_kind:     by_value
    .group_segment_fixed_size: 10248
    .kernarg_segment_align: 8
    .kernarg_segment_size: 116
    .language:       OpenCL C
    .language_version:
      - 2
      - 0
    .max_flat_workgroup_size: 512
    .name:           _ZN9rocsparseL45csrgemm_symbolic_fill_block_per_row_multipassILj512ELj16ELj2048ELj32EllEEvT4_PKS1_S3_PKT3_S3_S6_S3_S6_S3_S6_PS1_PS4_21rocsparse_index_base_S9_S9_S9_bb
    .private_segment_fixed_size: 0
    .sgpr_count:     58
    .sgpr_spill_count: 0
    .symbol:         _ZN9rocsparseL45csrgemm_symbolic_fill_block_per_row_multipassILj512ELj16ELj2048ELj32EllEEvT4_PKS1_S3_PKT3_S3_S6_S3_S6_S3_S6_PS1_PS4_21rocsparse_index_base_S9_S9_S9_bb.kd
    .uniform_work_group_size: 1
    .uses_dynamic_stack: false
    .vgpr_count:     41
    .vgpr_spill_count: 0
    .wavefront_size: 32
  - .args:
      - .offset:         0
        .size:           8
        .value_kind:     by_value
      - .actual_access:  read_only
        .address_space:  global
        .offset:         8
        .size:           8
        .value_kind:     global_buffer
      - .actual_access:  read_only
        .address_space:  global
        .offset:         16
        .size:           8
        .value_kind:     global_buffer
      - .actual_access:  read_only
        .address_space:  global
        .offset:         24
        .size:           8
        .value_kind:     global_buffer
      - .actual_access:  read_only
        .address_space:  global
        .offset:         32
        .size:           8
        .value_kind:     global_buffer
      - .actual_access:  read_only
        .address_space:  global
        .offset:         40
        .size:           8
        .value_kind:     global_buffer
      - .actual_access:  read_only
        .address_space:  global
        .offset:         48
        .size:           8
        .value_kind:     global_buffer
      - .actual_access:  read_only
        .address_space:  global
        .offset:         56
        .size:           8
        .value_kind:     global_buffer
      - .actual_access:  read_only
        .address_space:  global
        .offset:         64
        .size:           8
        .value_kind:     global_buffer
      - .actual_access:  read_only
        .address_space:  global
        .offset:         72
        .size:           8
        .value_kind:     global_buffer
      - .actual_access:  write_only
        .address_space:  global
        .offset:         80
        .size:           8
        .value_kind:     global_buffer
      - .address_space:  global
        .offset:         88
        .size:           8
        .value_kind:     global_buffer
      - .offset:         96
        .size:           4
        .value_kind:     by_value
      - .offset:         100
        .size:           4
        .value_kind:     by_value
      - .offset:         104
        .size:           4
        .value_kind:     by_value
      - .offset:         108
        .size:           4
        .value_kind:     by_value
      - .offset:         112
        .size:           1
        .value_kind:     by_value
      - .offset:         113
        .size:           1
        .value_kind:     by_value
    .group_segment_fixed_size: 10248
    .kernarg_segment_align: 8
    .kernarg_segment_size: 116
    .language:       OpenCL C
    .language_version:
      - 2
      - 0
    .max_flat_workgroup_size: 512
    .name:           _ZN9rocsparseL45csrgemm_symbolic_fill_block_per_row_multipassILj512ELj16ELj2048ELj64EllEEvT4_PKS1_S3_PKT3_S3_S6_S3_S6_S3_S6_PS1_PS4_21rocsparse_index_base_S9_S9_S9_bb
    .private_segment_fixed_size: 0
    .sgpr_count:     50
    .sgpr_spill_count: 0
    .symbol:         _ZN9rocsparseL45csrgemm_symbolic_fill_block_per_row_multipassILj512ELj16ELj2048ELj64EllEEvT4_PKS1_S3_PKT3_S3_S6_S3_S6_S3_S6_PS1_PS4_21rocsparse_index_base_S9_S9_S9_bb.kd
    .uniform_work_group_size: 1
    .uses_dynamic_stack: false
    .vgpr_count:     41
    .vgpr_spill_count: 0
    .wavefront_size: 32
amdhsa.target:   amdgcn-amd-amdhsa--gfx1250
amdhsa.version:
  - 1
  - 2
...

	.end_amdgpu_metadata
